;; amdgpu-corpus repo=ROCm/rocFFT kind=compiled arch=gfx1030 opt=O3
	.text
	.amdgcn_target "amdgcn-amd-amdhsa--gfx1030"
	.amdhsa_code_object_version 6
	.protected	bluestein_single_back_len960_dim1_half_op_CI_CI ; -- Begin function bluestein_single_back_len960_dim1_half_op_CI_CI
	.globl	bluestein_single_back_len960_dim1_half_op_CI_CI
	.p2align	8
	.type	bluestein_single_back_len960_dim1_half_op_CI_CI,@function
bluestein_single_back_len960_dim1_half_op_CI_CI: ; @bluestein_single_back_len960_dim1_half_op_CI_CI
; %bb.0:
	s_load_dwordx4 s[0:3], s[4:5], 0x28
	v_mul_u32_u24_e32 v1, 0x19a, v0
	v_mov_b32_e32 v17, 0
	v_lshrrev_b32_e32 v1, 16, v1
	v_add_nc_u32_e32 v16, s6, v1
	s_waitcnt lgkmcnt(0)
	v_cmp_gt_u64_e32 vcc_lo, s[0:1], v[16:17]
	s_and_saveexec_b32 s0, vcc_lo
	s_cbranch_execz .LBB0_23
; %bb.1:
	s_clause 0x1
	s_load_dwordx2 s[10:11], s[4:5], 0x0
	s_load_dwordx2 s[8:9], s[4:5], 0x38
	v_mul_lo_u16 v1, 0xa0, v1
	v_sub_nc_u16 v0, v0, v1
	v_and_b32_e32 v34, 0xffff, v0
	v_cmp_gt_u16_e32 vcc_lo, 60, v0
	v_lshlrev_b32_e32 v33, 2, v34
	s_and_saveexec_b32 s1, vcc_lo
	s_cbranch_execz .LBB0_3
; %bb.2:
	s_load_dwordx2 s[6:7], s[4:5], 0x18
	v_add_nc_u32_e32 v37, 0x400, v33
	v_add_nc_u32_e32 v38, 0x600, v33
	;; [unrolled: 1-line block ×4, first 2 shown]
	s_waitcnt lgkmcnt(0)
	s_load_dwordx4 s[12:15], s[6:7], 0x0
	s_waitcnt lgkmcnt(0)
	v_mad_u64_u32 v[0:1], null, s14, v16, 0
	v_mad_u64_u32 v[2:3], null, s12, v34, 0
	s_mul_i32 s6, s13, 0xf0
	s_mul_hi_u32 s7, s12, 0xf0
	v_mad_u64_u32 v[4:5], null, s15, v16, v[1:2]
	v_mad_u64_u32 v[5:6], null, s13, v34, v[3:4]
	v_mov_b32_e32 v1, v4
	v_lshlrev_b64 v[0:1], 2, v[0:1]
	v_mov_b32_e32 v3, v5
	v_add_co_u32 v0, s0, s2, v0
	v_lshlrev_b64 v[2:3], 2, v[2:3]
	v_add_co_ci_u32_e64 v1, s0, s3, v1, s0
	s_mul_i32 s2, s12, 0xf0
	s_add_i32 s3, s7, s6
	v_add_co_u32 v0, s0, v0, v2
	v_add_co_ci_u32_e64 v1, s0, v1, v3, s0
	v_add_co_u32 v2, s0, v0, s2
	v_add_co_ci_u32_e64 v3, s0, s3, v1, s0
	;; [unrolled: 2-line block ×3, first 2 shown]
	v_add_co_u32 v6, s0, s10, v33
	v_add_co_ci_u32_e64 v7, null, s11, 0, s0
	global_load_dword v8, v[0:1], off
	global_load_dword v9, v33, s[10:11]
	s_clause 0x1
	global_load_dword v10, v[2:3], off
	global_load_dword v11, v[4:5], off
	v_add_co_u32 v0, s0, v4, s2
	v_add_co_ci_u32_e64 v1, s0, s3, v5, s0
	s_clause 0x6
	global_load_dword v12, v33, s[10:11] offset:240
	global_load_dword v13, v33, s[10:11] offset:480
	;; [unrolled: 1-line block ×7, first 2 shown]
	global_load_dword v20, v[0:1], off
	v_add_co_u32 v0, s0, v0, s2
	v_add_co_ci_u32_e64 v1, s0, s3, v1, s0
	global_load_dword v21, v33, s[10:11] offset:1920
	v_add_co_u32 v2, s0, v0, s2
	v_add_co_ci_u32_e64 v3, s0, s3, v1, s0
	global_load_dword v22, v[0:1], off
	v_add_co_u32 v0, s0, v2, s2
	v_add_co_ci_u32_e64 v1, s0, s3, v3, s0
	global_load_dword v23, v[2:3], off
	v_add_co_u32 v2, s0, v0, s2
	v_add_co_ci_u32_e64 v3, s0, s3, v1, s0
	global_load_dword v24, v[0:1], off
	v_add_co_u32 v0, s0, v2, s2
	v_add_co_ci_u32_e64 v1, s0, s3, v3, s0
	global_load_dword v25, v[2:3], off
	v_add_co_u32 v2, s0, v0, s2
	v_add_co_ci_u32_e64 v3, s0, s3, v1, s0
	v_add_co_u32 v4, s0, 0x800, v6
	v_add_co_ci_u32_e64 v5, s0, 0, v7, s0
	global_load_dword v6, v[0:1], off
	global_load_dword v7, v[2:3], off
	v_add_co_u32 v0, s0, v2, s2
	v_add_co_ci_u32_e64 v1, s0, s3, v3, s0
	s_clause 0x3
	global_load_dword v26, v[4:5], off offset:112
	global_load_dword v27, v[4:5], off offset:352
	;; [unrolled: 1-line block ×4, first 2 shown]
	v_add_co_u32 v2, s0, v0, s2
	v_add_co_ci_u32_e64 v3, s0, s3, v1, s0
	global_load_dword v30, v[0:1], off
	v_add_co_u32 v0, s0, v2, s2
	v_add_co_ci_u32_e64 v1, s0, s3, v3, s0
	global_load_dword v31, v[2:3], off
	;; [unrolled: 3-line block ×4, first 2 shown]
	v_add_co_u32 v2, s0, v0, s2
	v_add_co_ci_u32_e64 v3, s0, s3, v1, s0
	global_load_dword v36, v[4:5], off offset:1072
	global_load_dword v0, v[0:1], off
	global_load_dword v1, v[2:3], off
	s_clause 0x1
	global_load_dword v2, v[4:5], off offset:1312
	global_load_dword v3, v[4:5], off offset:1552
	v_add_nc_u32_e32 v4, 0x200, v33
	s_waitcnt vmcnt(31)
	v_lshrrev_b32_e32 v5, 16, v8
	s_waitcnt vmcnt(30)
	v_mul_f16_sdwa v40, v9, v8 dst_sel:DWORD dst_unused:UNUSED_PAD src0_sel:WORD_1 src1_sel:DWORD
	s_waitcnt vmcnt(29)
	v_lshrrev_b32_e32 v42, 16, v10
	s_waitcnt vmcnt(27)
	v_mul_f16_sdwa v44, v12, v10 dst_sel:DWORD dst_unused:UNUSED_PAD src0_sel:WORD_1 src1_sel:DWORD
	v_mul_f16_sdwa v41, v9, v5 dst_sel:DWORD dst_unused:UNUSED_PAD src0_sel:WORD_1 src1_sel:DWORD
	v_fma_f16 v5, v9, v5, -v40
	v_fma_f16 v40, v12, v42, -v44
	v_fmac_f16_e32 v41, v9, v8
	v_mul_f16_sdwa v8, v12, v42 dst_sel:DWORD dst_unused:UNUSED_PAD src0_sel:WORD_1 src1_sel:DWORD
	v_lshrrev_b32_e32 v9, 16, v11
	s_waitcnt vmcnt(26)
	v_mul_f16_sdwa v42, v13, v11 dst_sel:DWORD dst_unused:UNUSED_PAD src0_sel:WORD_1 src1_sel:DWORD
	v_pack_b32_f16 v5, v41, v5
	v_fmac_f16_e32 v8, v12, v10
	v_mul_f16_sdwa v10, v13, v9 dst_sel:DWORD dst_unused:UNUSED_PAD src0_sel:WORD_1 src1_sel:DWORD
	s_waitcnt vmcnt(20)
	v_lshrrev_b32_e32 v12, 16, v20
	v_mul_f16_sdwa v41, v14, v20 dst_sel:DWORD dst_unused:UNUSED_PAD src0_sel:WORD_1 src1_sel:DWORD
	v_fma_f16 v9, v13, v9, -v42
	v_pack_b32_f16 v8, v8, v40
	v_fmac_f16_e32 v10, v13, v11
	v_mul_f16_sdwa v11, v14, v12 dst_sel:DWORD dst_unused:UNUSED_PAD src0_sel:WORD_1 src1_sel:DWORD
	s_waitcnt vmcnt(18)
	v_lshrrev_b32_e32 v13, 16, v22
	v_fma_f16 v12, v14, v12, -v41
	v_mul_f16_sdwa v40, v15, v22 dst_sel:DWORD dst_unused:UNUSED_PAD src0_sel:WORD_1 src1_sel:DWORD
	ds_write2_b32 v33, v5, v8 offset1:60
	v_pack_b32_f16 v5, v10, v9
	v_fmac_f16_e32 v11, v14, v20
	v_mul_f16_sdwa v8, v15, v13 dst_sel:DWORD dst_unused:UNUSED_PAD src0_sel:WORD_1 src1_sel:DWORD
	s_waitcnt vmcnt(17)
	v_lshrrev_b32_e32 v9, 16, v23
	v_mul_f16_sdwa v10, v17, v23 dst_sel:DWORD dst_unused:UNUSED_PAD src0_sel:WORD_1 src1_sel:DWORD
	v_fma_f16 v13, v15, v13, -v40
	v_pack_b32_f16 v11, v11, v12
	v_fmac_f16_e32 v8, v15, v22
	v_mul_f16_sdwa v12, v17, v9 dst_sel:DWORD dst_unused:UNUSED_PAD src0_sel:WORD_1 src1_sel:DWORD
	v_fma_f16 v9, v17, v9, -v10
	s_waitcnt vmcnt(16)
	v_lshrrev_b32_e32 v10, 16, v24
	v_mul_f16_sdwa v14, v18, v24 dst_sel:DWORD dst_unused:UNUSED_PAD src0_sel:WORD_1 src1_sel:DWORD
	ds_write2_b32 v33, v5, v11 offset0:120 offset1:180
	v_pack_b32_f16 v5, v8, v13
	v_fmac_f16_e32 v12, v17, v23
	v_mul_f16_sdwa v8, v18, v10 dst_sel:DWORD dst_unused:UNUSED_PAD src0_sel:WORD_1 src1_sel:DWORD
	s_waitcnt vmcnt(15)
	v_lshrrev_b32_e32 v11, 16, v25
	v_mul_f16_sdwa v13, v19, v25 dst_sel:DWORD dst_unused:UNUSED_PAD src0_sel:WORD_1 src1_sel:DWORD
	v_fma_f16 v10, v18, v10, -v14
	v_pack_b32_f16 v9, v12, v9
	v_fmac_f16_e32 v8, v18, v24
	v_mul_f16_sdwa v12, v19, v11 dst_sel:DWORD dst_unused:UNUSED_PAD src0_sel:WORD_1 src1_sel:DWORD
	v_fma_f16 v11, v19, v11, -v13
	s_waitcnt vmcnt(14)
	v_lshrrev_b32_e32 v13, 16, v6
	v_mul_f16_sdwa v14, v21, v6 dst_sel:DWORD dst_unused:UNUSED_PAD src0_sel:WORD_1 src1_sel:DWORD
	ds_write2_b32 v4, v5, v9 offset0:112 offset1:172
	v_pack_b32_f16 v4, v8, v10
	v_fmac_f16_e32 v12, v19, v25
	v_mul_f16_sdwa v5, v21, v13 dst_sel:DWORD dst_unused:UNUSED_PAD src0_sel:WORD_1 src1_sel:DWORD
	s_waitcnt vmcnt(13)
	v_lshrrev_b32_e32 v8, 16, v7
	v_fma_f16 v9, v21, v13, -v14
	s_waitcnt vmcnt(12)
	v_mul_f16_sdwa v10, v26, v7 dst_sel:DWORD dst_unused:UNUSED_PAD src0_sel:WORD_1 src1_sel:DWORD
	v_pack_b32_f16 v11, v12, v11
	v_fmac_f16_e32 v5, v21, v6
	v_mul_f16_sdwa v6, v26, v8 dst_sel:DWORD dst_unused:UNUSED_PAD src0_sel:WORD_1 src1_sel:DWORD
	s_waitcnt vmcnt(8)
	v_lshrrev_b32_e32 v12, 16, v30
	v_mul_f16_sdwa v13, v27, v30 dst_sel:DWORD dst_unused:UNUSED_PAD src0_sel:WORD_1 src1_sel:DWORD
	v_fma_f16 v8, v26, v8, -v10
	v_pack_b32_f16 v5, v5, v9
	v_fmac_f16_e32 v6, v26, v7
	v_mul_f16_sdwa v7, v27, v12 dst_sel:DWORD dst_unused:UNUSED_PAD src0_sel:WORD_1 src1_sel:DWORD
	v_fma_f16 v9, v27, v12, -v13
	s_waitcnt vmcnt(7)
	v_lshrrev_b32_e32 v10, 16, v31
	v_mul_f16_sdwa v12, v28, v31 dst_sel:DWORD dst_unused:UNUSED_PAD src0_sel:WORD_1 src1_sel:DWORD
	v_pack_b32_f16 v6, v6, v8
	v_fmac_f16_e32 v7, v27, v30
	s_waitcnt vmcnt(6)
	v_lshrrev_b32_e32 v8, 16, v32
	v_mul_f16_sdwa v13, v28, v10 dst_sel:DWORD dst_unused:UNUSED_PAD src0_sel:WORD_1 src1_sel:DWORD
	v_fma_f16 v10, v28, v10, -v12
	v_mul_f16_sdwa v12, v29, v32 dst_sel:DWORD dst_unused:UNUSED_PAD src0_sel:WORD_1 src1_sel:DWORD
	s_waitcnt vmcnt(5)
	v_lshrrev_b32_e32 v14, 16, v35
	v_pack_b32_f16 v7, v7, v9
	v_mul_f16_sdwa v9, v29, v8 dst_sel:DWORD dst_unused:UNUSED_PAD src0_sel:WORD_1 src1_sel:DWORD
	s_waitcnt vmcnt(3)
	v_lshrrev_b32_e32 v15, 16, v0
	v_fma_f16 v8, v29, v8, -v12
	v_mul_f16_sdwa v12, v36, v35 dst_sel:DWORD dst_unused:UNUSED_PAD src0_sel:WORD_1 src1_sel:DWORD
	s_waitcnt vmcnt(2)
	v_lshrrev_b32_e32 v18, 16, v1
	v_mul_f16_sdwa v17, v36, v14 dst_sel:DWORD dst_unused:UNUSED_PAD src0_sel:WORD_1 src1_sel:DWORD
	s_waitcnt vmcnt(1)
	v_mul_f16_sdwa v19, v2, v15 dst_sel:DWORD dst_unused:UNUSED_PAD src0_sel:WORD_1 src1_sel:DWORD
	s_waitcnt vmcnt(0)
	v_mul_f16_sdwa v20, v3, v1 dst_sel:DWORD dst_unused:UNUSED_PAD src0_sel:WORD_1 src1_sel:DWORD
	v_fma_f16 v12, v36, v14, -v12
	v_mul_f16_sdwa v14, v2, v0 dst_sel:DWORD dst_unused:UNUSED_PAD src0_sel:WORD_1 src1_sel:DWORD
	v_mul_f16_sdwa v21, v3, v18 dst_sel:DWORD dst_unused:UNUSED_PAD src0_sel:WORD_1 src1_sel:DWORD
	v_fmac_f16_e32 v13, v28, v31
	v_fmac_f16_e32 v9, v29, v32
	;; [unrolled: 1-line block ×3, first 2 shown]
	v_fma_f16 v14, v2, v15, -v14
	v_fmac_f16_e32 v19, v2, v0
	v_fma_f16 v0, v3, v18, -v20
	v_fmac_f16_e32 v21, v3, v1
	v_pack_b32_f16 v1, v13, v10
	v_pack_b32_f16 v2, v9, v8
	;; [unrolled: 1-line block ×5, first 2 shown]
	v_add_nc_u32_e32 v9, 0xc00, v33
	ds_write2_b32 v37, v4, v11 offset0:104 offset1:164
	ds_write2_b32 v38, v5, v6 offset0:96 offset1:156
	;; [unrolled: 1-line block ×5, first 2 shown]
.LBB0_3:
	s_or_b32 exec_lo, exec_lo, s1
	s_waitcnt lgkmcnt(0)
	s_barrier
	buffer_gl0_inv
                                        ; implicit-def: $vgpr0
                                        ; implicit-def: $vgpr14
                                        ; implicit-def: $vgpr4
                                        ; implicit-def: $vgpr12
                                        ; implicit-def: $vgpr2
                                        ; implicit-def: $vgpr10
                                        ; implicit-def: $vgpr6
                                        ; implicit-def: $vgpr8
	s_and_saveexec_b32 s0, vcc_lo
	s_cbranch_execz .LBB0_5
; %bb.4:
	v_add_nc_u32_e32 v4, 0x200, v33
	v_add_nc_u32_e32 v6, 0x400, v33
	;; [unrolled: 1-line block ×6, first 2 shown]
	ds_read2_b32 v[0:1], v33 offset1:60
	ds_read2_b32 v[2:3], v33 offset0:120 offset1:180
	ds_read2_b32 v[4:5], v4 offset0:112 offset1:172
	;; [unrolled: 1-line block ×7, first 2 shown]
.LBB0_5:
	s_or_b32 exec_lo, exec_lo, s0
	s_waitcnt lgkmcnt(3)
	v_pk_add_f16 v14, v0, v14 neg_lo:[0,1] neg_hi:[0,1]
	s_waitcnt lgkmcnt(2)
	v_pk_add_f16 v10, v2, v10 neg_lo:[0,1] neg_hi:[0,1]
	v_pk_add_f16 v15, v1, v15 neg_lo:[0,1] neg_hi:[0,1]
	;; [unrolled: 1-line block ×3, first 2 shown]
	s_waitcnt lgkmcnt(1)
	v_pk_add_f16 v12, v4, v12 neg_lo:[0,1] neg_hi:[0,1]
	s_waitcnt lgkmcnt(0)
	v_pk_add_f16 v8, v6, v8 neg_lo:[0,1] neg_hi:[0,1]
	v_lshrrev_b32_e32 v17, 16, v14
	v_pk_add_f16 v13, v5, v13 neg_lo:[0,1] neg_hi:[0,1]
	v_lshrrev_b32_e32 v19, 16, v10
	;; [unrolled: 2-line block ×3, first 2 shown]
	v_lshrrev_b32_e32 v27, 16, v11
	v_add_f16_e32 v20, v12, v17
	v_add_f16_e32 v23, v8, v19
	v_sub_f16_sdwa v18, v14, v12 dst_sel:DWORD dst_unused:UNUSED_PAD src0_sel:DWORD src1_sel:WORD_1
	v_add_f16_e32 v28, v13, v24
	v_add_f16_e32 v31, v9, v27
	v_sub_f16_sdwa v21, v10, v8 dst_sel:DWORD dst_unused:UNUSED_PAD src0_sel:DWORD src1_sel:WORD_1
	v_fma_f16 v17, v17, 2.0, -v20
	v_sub_f16_sdwa v25, v15, v13 dst_sel:DWORD dst_unused:UNUSED_PAD src0_sel:DWORD src1_sel:WORD_1
	v_fma_f16 v19, v19, 2.0, -v23
	;; [unrolled: 2-line block ×3, first 2 shown]
	v_fma_f16 v27, v27, 2.0, -v31
	v_fma_f16 v22, v14, 2.0, -v18
	;; [unrolled: 1-line block ×4, first 2 shown]
	v_fmamk_f16 v35, v19, 0xb9a8, v17
	v_fma_f16 v36, v11, 2.0, -v30
	v_fmamk_f16 v43, v27, 0xb9a8, v24
	v_pk_fma_f16 v0, v0, 2.0, v14 op_sel_hi:[1,0,1] neg_lo:[0,0,1] neg_hi:[0,0,1]
	v_pk_fma_f16 v4, v4, 2.0, v12 op_sel_hi:[1,0,1] neg_lo:[0,0,1] neg_hi:[0,0,1]
	;; [unrolled: 1-line block ×8, first 2 shown]
	v_fmamk_f16 v32, v26, 0xb9a8, v22
	v_fmac_f16_e32 v35, 0x39a8, v26
	v_fmamk_f16 v37, v21, 0x39a8, v18
	v_fmamk_f16 v47, v23, 0x39a8, v20
	v_fmamk_f16 v41, v36, 0xb9a8, v29
	v_fmac_f16_e32 v43, 0x39a8, v36
	v_fmamk_f16 v36, v30, 0x39a8, v25
	v_pk_add_f16 v4, v0, v4 neg_lo:[0,1] neg_hi:[0,1]
	v_pk_add_f16 v6, v2, v6 neg_lo:[0,1] neg_hi:[0,1]
	;; [unrolled: 1-line block ×4, first 2 shown]
	v_fmac_f16_e32 v32, 0xb9a8, v19
	v_fmac_f16_e32 v37, 0xb9a8, v23
	;; [unrolled: 1-line block ×4, first 2 shown]
	v_fma_f16 v21, v17, 2.0, -v35
	v_fma_f16 v17, v24, 2.0, -v43
	v_fmamk_f16 v48, v31, 0x39a8, v28
	v_fmac_f16_e32 v36, 0xb9a8, v31
	v_pk_fma_f16 v0, v0, 2.0, v4 op_sel_hi:[1,0,1] neg_lo:[0,0,1] neg_hi:[0,0,1]
	v_pk_fma_f16 v2, v2, 2.0, v6 op_sel_hi:[1,0,1] neg_lo:[0,0,1] neg_hi:[0,0,1]
	;; [unrolled: 1-line block ×4, first 2 shown]
	v_fma_f16 v19, v22, 2.0, -v32
	v_fma_f16 v22, v18, 2.0, -v37
	;; [unrolled: 1-line block ×3, first 2 shown]
	v_fmac_f16_e32 v48, 0x39a8, v30
	v_fma_f16 v9, v25, 2.0, -v36
	v_pk_add_f16 v2, v0, v2 neg_lo:[0,1] neg_hi:[0,1]
	v_lshrrev_b32_e32 v8, 16, v4
	v_pk_add_f16 v3, v1, v3 neg_lo:[0,1] neg_hi:[0,1]
	v_lshrrev_b32_e32 v13, 16, v5
	v_fmamk_f16 v44, v17, 0xbb64, v21
	v_fma_f16 v10, v28, 2.0, -v48
	v_sub_f16_sdwa v11, v4, v6 dst_sel:DWORD dst_unused:UNUSED_PAD src0_sel:DWORD src1_sel:WORD_1
	v_pk_fma_f16 v0, v0, 2.0, v2 op_sel_hi:[1,0,1] neg_lo:[0,0,1] neg_hi:[0,0,1]
	v_add_f16_e32 v6, v6, v8
	v_pk_fma_f16 v1, v1, 2.0, v3 op_sel_hi:[1,0,1] neg_lo:[0,0,1] neg_hi:[0,0,1]
	v_sub_f16_sdwa v14, v5, v7 dst_sel:DWORD dst_unused:UNUSED_PAD src0_sel:DWORD src1_sel:WORD_1
	v_add_f16_e32 v7, v7, v13
	v_fmamk_f16 v24, v18, 0xbb64, v19
	v_fmac_f16_e32 v44, 0x361f, v18
	v_fmamk_f16 v18, v9, 0xb61f, v22
	v_fma_f16 v23, v20, 2.0, -v47
	v_fma_f16 v4, v4, 2.0, -v11
	v_fma_f16 v15, v8, 2.0, -v6
	v_pk_add_f16 v12, v0, v1 neg_lo:[0,1] neg_hi:[0,1]
	v_fma_f16 v1, v5, 2.0, -v14
	v_fma_f16 v5, v13, 2.0, -v7
	v_fmac_f16_e32 v18, 0xbb64, v10
	v_fmamk_f16 v20, v41, 0x361f, v32
	v_fmamk_f16 v40, v43, 0x361f, v35
	v_fmac_f16_e32 v24, 0xb61f, v17
	v_pk_fma_f16 v8, v0, 2.0, v12 op_sel_hi:[1,0,1] neg_lo:[0,0,1] neg_hi:[0,0,1]
	v_fmamk_f16 v17, v1, 0xb9a8, v4
	v_fmamk_f16 v39, v5, 0xb9a8, v15
	v_fma_f16 v45, v21, 2.0, -v44
	v_fmamk_f16 v38, v10, 0xb61f, v23
	v_lshrrev_b32_e32 v0, 16, v2
	v_fma_f16 v28, v22, 2.0, -v18
	v_fmac_f16_e32 v20, 0xbb64, v43
	v_fmac_f16_e32 v40, 0x3b64, v41
	v_fmamk_f16 v21, v14, 0x39a8, v11
	v_fmamk_f16 v43, v7, 0x39a8, v6
	;; [unrolled: 1-line block ×4, first 2 shown]
	v_fma_f16 v26, v19, 2.0, -v24
	v_fmac_f16_e32 v17, 0xb9a8, v5
	v_fmac_f16_e32 v39, 0x39a8, v1
	;; [unrolled: 1-line block ×3, first 2 shown]
	v_sub_f16_sdwa v19, v2, v3 dst_sel:DWORD dst_unused:UNUSED_PAD src0_sel:DWORD src1_sel:WORD_1
	v_add_f16_e32 v42, v3, v0
	v_fmac_f16_e32 v21, 0xb9a8, v7
	v_fmac_f16_e32 v43, 0x39a8, v14
	v_fmac_f16_e32 v22, 0xb61f, v48
	v_fmac_f16_e32 v41, 0x361f, v36
	v_fma_f16 v27, v4, 2.0, -v17
	v_fma_f16 v46, v15, 2.0, -v39
	;; [unrolled: 1-line block ×11, first 2 shown]
	v_lshlrev_b16 v37, 4, v34
	s_barrier
	buffer_gl0_inv
	s_and_saveexec_b32 s0, vcc_lo
	s_cbranch_execz .LBB0_7
; %bb.6:
	v_mov_b32_e32 v0, 2
	v_perm_b32 v11, v49, v28, 0x5040100
	v_perm_b32 v10, v46, v27, 0x5040100
	;; [unrolled: 1-line block ×4, first 2 shown]
	v_lshlrev_b32_sdwa v23, v0, v37 dst_sel:DWORD dst_unused:UNUSED_PAD src0_sel:DWORD src1_sel:WORD_0
	v_perm_b32 v2, v56, v31, 0x5040100
	v_perm_b32 v1, v55, v30, 0x5040100
	;; [unrolled: 1-line block ×10, first 2 shown]
	ds_write_b128 v23, v[8:11]
	ds_write_b128 v23, v[0:3] offset:16
	ds_write_b128 v23, v[12:15] offset:32
	;; [unrolled: 1-line block ×3, first 2 shown]
.LBB0_7:
	s_or_b32 exec_lo, exec_lo, s0
	s_clause 0x1
	s_load_dwordx2 s[2:3], s[4:5], 0x20
	s_load_dwordx2 s[4:5], s[4:5], 0x8
	v_cmp_gt_u16_e64 s0, 0x60, v34
	s_waitcnt lgkmcnt(0)
	s_barrier
	buffer_gl0_inv
	s_and_saveexec_b32 s1, s0
	s_cbranch_execz .LBB0_9
; %bb.8:
	v_add_nc_u32_e32 v0, 0x200, v33
	v_add_nc_u32_e32 v1, 0x400, v33
	v_add_nc_u32_e32 v2, 0x800, v33
	ds_read2_b32 v[25:26], v33 offset1:96
	ds_read2_b32 v[27:28], v0 offset0:64 offset1:160
	v_add_nc_u32_e32 v0, 0xc00, v33
	ds_read2_b32 v[29:30], v1 offset0:128 offset1:224
	ds_read2_b32 v[31:32], v2 offset0:64 offset1:160
	ds_read2_b32 v[23:24], v0 offset1:96
	s_waitcnt lgkmcnt(4)
	v_lshrrev_b32_e32 v45, 16, v26
	v_mov_b32_e32 v8, v25
	s_waitcnt lgkmcnt(3)
	v_lshrrev_b32_e32 v46, 16, v27
	v_lshrrev_b32_e32 v49, 16, v28
	s_waitcnt lgkmcnt(2)
	v_lshrrev_b32_e32 v51, 16, v29
	v_lshrrev_b32_e32 v55, 16, v30
	;; [unrolled: 3-line block ×3, first 2 shown]
	s_waitcnt lgkmcnt(0)
	v_lshrrev_b32_e32 v44, 16, v24
	v_mov_b32_e32 v12, v23
.LBB0_9:
	s_or_b32 exec_lo, exec_lo, s1
	v_and_b32_e32 v35, 15, v34
	v_lshrrev_b32_e32 v13, 16, v12
	v_lshrrev_b32_e32 v50, 16, v8
	v_mad_u64_u32 v[9:10], null, v35, 36, s[4:5]
	s_clause 0x2
	global_load_dwordx4 v[0:3], v[9:10], off
	global_load_dwordx4 v[4:7], v[9:10], off offset:16
	global_load_dword v36, v[9:10], off offset:32
	s_waitcnt vmcnt(0)
	s_barrier
	buffer_gl0_inv
	v_mul_f16_sdwa v15, v46, v1 dst_sel:DWORD dst_unused:UNUSED_PAD src0_sel:DWORD src1_sel:WORD_1
	v_mul_f16_sdwa v53, v27, v1 dst_sel:DWORD dst_unused:UNUSED_PAD src0_sel:DWORD src1_sel:WORD_1
	;; [unrolled: 1-line block ×18, first 2 shown]
	v_fma_f16 v54, v27, v1, -v15
	v_fmac_f16_e32 v53, v46, v1
	v_fma_f16 v46, v28, v2, -v58
	v_fmac_f16_e32 v52, v49, v2
	;; [unrolled: 2-line block ×6, first 2 shown]
	v_fmac_f16_e32 v11, v13, v7
	v_fma_f16 v51, v12, v7, -v63
	v_fma_f16 v24, v24, v36, -v64
	v_fmac_f16_e32 v47, v44, v36
	v_fma_f16 v26, v26, v0, -v14
	v_fmac_f16_e32 v48, v45, v0
	v_add_f16_e32 v12, v27, v28
	v_sub_f16_e32 v15, v54, v27
	v_sub_f16_e32 v29, v51, v28
	v_add_f16_e32 v31, v54, v51
	v_sub_f16_e32 v32, v27, v54
	v_sub_f16_e32 v44, v28, v51
	;; [unrolled: 3-line block ×3, first 2 shown]
	v_sub_f16_e32 v58, v9, v53
	v_sub_f16_e32 v59, v10, v11
	v_add_f16_e32 v61, v30, v49
	v_add_f16_e32 v67, v46, v24
	v_sub_f16_e32 v68, v30, v46
	v_sub_f16_e32 v69, v49, v24
	v_add_f16_e32 v70, v23, v25
	v_add_f16_e32 v75, v52, v47
	v_sub_f16_e32 v65, v52, v47
	v_sub_f16_e32 v66, v23, v25
	v_sub_f16_e32 v71, v46, v24
	v_sub_f16_e32 v72, v30, v49
	v_sub_f16_e32 v73, v52, v23
	v_sub_f16_e32 v74, v47, v25
	v_sub_f16_e32 v76, v23, v52
	v_sub_f16_e32 v77, v25, v47
	v_add_f16_e32 v15, v15, v29
	v_add_f16_e32 v29, v32, v44
	;; [unrolled: 1-line block ×5, first 2 shown]
	v_fma_f16 v56, -0.5, v12, v8
	v_fma_f16 v55, -0.5, v31, v8
	;; [unrolled: 1-line block ×7, first 2 shown]
	v_sub_f16_e32 v13, v53, v11
	v_sub_f16_e32 v14, v9, v10
	v_add_f16_e32 v57, v53, v11
	v_sub_f16_e32 v60, v46, v30
	v_sub_f16_e32 v62, v24, v49
	v_add_f16_e32 v67, v73, v74
	v_add_f16_e32 v70, v76, v77
	v_fmamk_f16 v73, v65, 0x3b9c, v12
	v_fmac_f16_e32 v12, 0xbb9c, v65
	v_fmamk_f16 v74, v66, 0xbb9c, v31
	v_fmac_f16_e32 v31, 0x3b9c, v66
	;; [unrolled: 2-line block ×4, first 2 shown]
	v_sub_f16_e32 v63, v54, v51
	v_sub_f16_e32 v64, v27, v28
	v_add_f16_e32 v78, v60, v62
	v_fma_f16 v60, -0.5, v57, v50
	v_fmamk_f16 v57, v13, 0x3b9c, v56
	v_fmac_f16_e32 v56, 0xbb9c, v13
	v_fmamk_f16 v58, v14, 0xbb9c, v55
	v_fmac_f16_e32 v55, 0x3b9c, v14
	v_fmac_f16_e32 v73, 0x38b4, v66
	;; [unrolled: 1-line block ×9, first 2 shown]
	v_fmamk_f16 v61, v63, 0xbb9c, v59
	v_fmac_f16_e32 v59, 0x3b9c, v63
	v_fmamk_f16 v62, v64, 0x3b9c, v60
	v_fmac_f16_e32 v60, 0xbb9c, v64
	v_fmac_f16_e32 v57, 0x38b4, v14
	;; [unrolled: 1-line block ×21, first 2 shown]
	v_mul_f16_e32 v63, 0x38b4, v75
	v_mul_f16_e32 v64, 0x3b9c, v76
	;; [unrolled: 1-line block ×8, first 2 shown]
	v_fmac_f16_e32 v61, 0x34f2, v32
	v_fmac_f16_e32 v59, 0x34f2, v32
	;; [unrolled: 1-line block ×6, first 2 shown]
	v_fma_f16 v66, v69, 0x3b9c, -v13
	v_fma_f16 v68, v45, 0x38b4, -v14
	v_fmac_f16_e32 v65, 0x3a79, v75
	v_fmac_f16_e32 v67, 0x34f2, v76
	v_fma_f16 v69, v31, 0xbb9c, -v15
	v_fma_f16 v70, v12, 0xb8b4, -v29
	v_sub_f16_e32 v12, v57, v63
	v_sub_f16_e32 v13, v58, v64
	;; [unrolled: 1-line block ×8, first 2 shown]
	v_lshrrev_b32_e32 v29, 4, v34
	s_and_saveexec_b32 s1, s0
	s_cbranch_execz .LBB0_11
; %bb.10:
	v_add_f16_e32 v50, v50, v53
	v_add_f16_e32 v48, v48, v52
	;; [unrolled: 1-line block ×14, first 2 shown]
	v_mul_u32_u24_e32 v25, 0xa0, v29
	v_add_f16_e32 v9, v9, v11
	v_add_f16_e32 v10, v10, v47
	v_add_f16_e32 v8, v8, v51
	v_add_f16_e32 v11, v23, v24
	v_or_b32_e32 v25, v25, v35
	v_add_f16_e32 v24, v60, v69
	v_sub_f16_e32 v26, v9, v10
	v_add_f16_e32 v9, v9, v10
	v_sub_f16_e32 v27, v8, v11
	v_add_f16_e32 v8, v8, v11
	v_add_f16_e32 v11, v57, v63
	;; [unrolled: 1-line block ×6, first 2 shown]
	v_lshlrev_b32_e32 v25, 2, v25
	v_pack_b32_f16 v8, v8, v9
	v_pack_b32_f16 v9, v11, v30
	;; [unrolled: 1-line block ×6, first 2 shown]
	v_perm_b32 v26, v32, v12, 0x5040100
	v_perm_b32 v27, v31, v13, 0x5040100
	;; [unrolled: 1-line block ×4, first 2 shown]
	ds_write2_b32 v25, v8, v9 offset1:16
	ds_write2_b32 v25, v11, v24 offset0:32 offset1:48
	ds_write2_b32 v25, v10, v23 offset0:64 offset1:80
	;; [unrolled: 1-line block ×4, first 2 shown]
.LBB0_11:
	s_or_b32 exec_lo, exec_lo, s1
	v_mad_u64_u32 v[23:24], null, v34, 20, s[4:5]
	s_load_dwordx4 s[4:7], s[2:3], 0x0
	s_waitcnt lgkmcnt(0)
	s_barrier
	buffer_gl0_inv
	v_add_nc_u32_e32 v53, 0x400, v33
	v_add_nc_u32_e32 v52, 0xa00, v33
	s_clause 0x1
	global_load_dwordx4 v[8:11], v[23:24], off offset:576
	global_load_dword v30, v[23:24], off offset:592
	ds_read2_b32 v[48:49], v33 offset1:160
	ds_read2_b32 v[23:24], v53 offset0:64 offset1:224
	ds_read2_b32 v[25:26], v52 offset1:160
	s_waitcnt lgkmcnt(2)
	v_lshrrev_b32_e32 v27, 16, v49
	s_waitcnt lgkmcnt(1)
	v_lshrrev_b32_e32 v46, 16, v24
	;; [unrolled: 2-line block ×3, first 2 shown]
	v_lshrrev_b32_e32 v28, 16, v23
	v_lshrrev_b32_e32 v47, 16, v25
	;; [unrolled: 1-line block ×3, first 2 shown]
	s_waitcnt vmcnt(1)
	v_mul_f16_sdwa v55, v49, v8 dst_sel:DWORD dst_unused:UNUSED_PAD src0_sel:DWORD src1_sel:WORD_1
	v_mul_f16_sdwa v57, v23, v9 dst_sel:DWORD dst_unused:UNUSED_PAD src0_sel:DWORD src1_sel:WORD_1
	;; [unrolled: 1-line block ×5, first 2 shown]
	s_waitcnt vmcnt(0)
	v_mul_f16_sdwa v62, v50, v30 dst_sel:DWORD dst_unused:UNUSED_PAD src0_sel:DWORD src1_sel:WORD_1
	v_mul_f16_sdwa v63, v26, v30 dst_sel:DWORD dst_unused:UNUSED_PAD src0_sel:DWORD src1_sel:WORD_1
	v_mul_f16_sdwa v51, v27, v8 dst_sel:DWORD dst_unused:UNUSED_PAD src0_sel:DWORD src1_sel:WORD_1
	v_mul_f16_sdwa v56, v28, v9 dst_sel:DWORD dst_unused:UNUSED_PAD src0_sel:DWORD src1_sel:WORD_1
	v_fmac_f16_e32 v55, v27, v8
	v_fmac_f16_e32 v57, v28, v9
	v_fma_f16 v24, v24, v10, -v58
	v_fmac_f16_e32 v59, v46, v10
	v_fmac_f16_e32 v61, v47, v11
	v_fma_f16 v26, v26, v30, -v62
	v_fmac_f16_e32 v63, v50, v30
	v_mul_f16_sdwa v60, v47, v11 dst_sel:DWORD dst_unused:UNUSED_PAD src0_sel:DWORD src1_sel:WORD_1
	v_fma_f16 v49, v49, v8, -v51
	v_fma_f16 v23, v23, v9, -v56
	v_sub_f16_e32 v46, v57, v61
	v_add_f16_e32 v47, v54, v57
	v_add_f16_e32 v50, v57, v61
	;; [unrolled: 1-line block ×3, first 2 shown]
	v_sub_f16_e32 v57, v59, v63
	v_add_f16_e32 v58, v55, v59
	v_add_f16_e32 v59, v59, v63
	v_fma_f16 v25, v25, v11, -v60
	v_add_f16_e32 v51, v49, v24
	v_sub_f16_e32 v24, v24, v26
	v_fmac_f16_e32 v49, -0.5, v56
	v_fmac_f16_e32 v55, -0.5, v59
	v_add_f16_e32 v28, v23, v25
	v_fmac_f16_e32 v54, -0.5, v50
	v_add_f16_e32 v27, v48, v23
	v_fmamk_f16 v50, v57, 0x3aee, v49
	v_fmac_f16_e32 v49, 0xbaee, v57
	v_fmamk_f16 v57, v24, 0xbaee, v55
	v_fmac_f16_e32 v55, 0x3aee, v24
	v_sub_f16_e32 v23, v23, v25
	v_fmac_f16_e32 v48, -0.5, v28
	v_add_f16_e32 v28, v58, v63
	v_mul_f16_e32 v58, 0x3aee, v57
	v_mul_f16_e32 v60, 0xbaee, v50
	v_add_f16_e32 v25, v27, v25
	v_add_f16_e32 v27, v47, v61
	v_mul_f16_e32 v59, -0.5, v49
	v_mul_f16_e32 v61, -0.5, v55
	v_add_f16_e32 v26, v51, v26
	v_fmamk_f16 v51, v46, 0x3aee, v48
	v_fmamk_f16 v56, v23, 0xbaee, v54
	v_fmac_f16_e32 v58, 0.5, v50
	v_fmac_f16_e32 v60, 0.5, v57
	v_fmac_f16_e32 v48, 0xbaee, v46
	v_fmac_f16_e32 v54, 0x3aee, v23
	v_fmac_f16_e32 v59, 0x3aee, v55
	v_fmac_f16_e32 v61, 0xbaee, v49
	v_add_f16_e32 v23, v25, v26
	v_add_f16_e32 v47, v27, v28
	;; [unrolled: 1-line block ×4, first 2 shown]
	v_sub_f16_e32 v26, v25, v26
	v_sub_f16_e32 v46, v27, v28
	v_add_f16_e32 v25, v48, v59
	v_add_f16_e32 v50, v54, v61
	v_sub_f16_e32 v27, v51, v58
	v_sub_f16_e32 v28, v48, v59
	;; [unrolled: 1-line block ×4, first 2 shown]
	v_pack_b32_f16 v55, v23, v47
	v_pack_b32_f16 v56, v24, v49
	;; [unrolled: 1-line block ×6, first 2 shown]
	ds_write2_b32 v33, v55, v56 offset1:160
	ds_write2_b32 v53, v57, v54 offset0:64 offset1:224
	ds_write2_b32 v52, v58, v59 offset1:160
	s_waitcnt lgkmcnt(0)
	s_barrier
	buffer_gl0_inv
	s_and_saveexec_b32 s2, vcc_lo
	s_cbranch_execz .LBB0_13
; %bb.12:
	v_add_co_u32 v58, s1, s10, v33
	v_add_co_ci_u32_e64 v59, null, s11, 0, s1
	v_add_co_u32 v54, s1, 0x800, v58
	v_add_co_ci_u32_e64 v55, s1, 0, v59, s1
	v_add_co_u32 v56, s1, 0xf00, v58
	v_add_co_ci_u32_e64 v57, s1, 0, v59, s1
	s_clause 0x7
	global_load_dword v60, v[54:55], off offset:1792
	global_load_dword v61, v[56:57], off offset:240
	;; [unrolled: 1-line block ×8, first 2 shown]
	v_add_co_u32 v54, s1, 0x1000, v58
	v_add_co_ci_u32_e64 v55, s1, 0, v59, s1
	s_clause 0x1
	global_load_dword v68, v[56:57], off offset:1920
	global_load_dword v69, v[54:55], off offset:1904
	v_add_co_u32 v54, s1, 0x1800, v58
	v_add_co_ci_u32_e64 v55, s1, 0, v59, s1
	s_clause 0x5
	global_load_dword v70, v[54:55], off offset:96
	global_load_dword v71, v[54:55], off offset:336
	;; [unrolled: 1-line block ×6, first 2 shown]
	ds_read2_b32 v[54:55], v33 offset1:60
	s_waitcnt lgkmcnt(0)
	v_lshrrev_b32_e32 v56, 16, v54
	v_lshrrev_b32_e32 v57, 16, v55
	s_waitcnt vmcnt(15)
	v_mul_f16_sdwa v58, v56, v60 dst_sel:DWORD dst_unused:UNUSED_PAD src0_sel:DWORD src1_sel:WORD_1
	v_mul_f16_sdwa v59, v54, v60 dst_sel:DWORD dst_unused:UNUSED_PAD src0_sel:DWORD src1_sel:WORD_1
	s_waitcnt vmcnt(14)
	v_mul_f16_sdwa v76, v57, v61 dst_sel:DWORD dst_unused:UNUSED_PAD src0_sel:DWORD src1_sel:WORD_1
	v_mul_f16_sdwa v77, v55, v61 dst_sel:DWORD dst_unused:UNUSED_PAD src0_sel:DWORD src1_sel:WORD_1
	v_fma_f16 v54, v54, v60, -v58
	v_fmac_f16_e32 v59, v56, v60
	v_fma_f16 v55, v55, v61, -v76
	v_fmac_f16_e32 v77, v57, v61
	v_add_nc_u32_e32 v60, 0x200, v33
	v_pack_b32_f16 v54, v54, v59
	v_pack_b32_f16 v55, v55, v77
	ds_write2_b32 v33, v54, v55 offset1:60
	ds_read2_b32 v[54:55], v33 offset0:120 offset1:180
	ds_read2_b32 v[56:57], v60 offset0:112 offset1:172
	;; [unrolled: 1-line block ×3, first 2 shown]
	s_waitcnt lgkmcnt(2)
	v_lshrrev_b32_e32 v61, 16, v54
	s_waitcnt vmcnt(13)
	v_mul_f16_sdwa v76, v54, v62 dst_sel:DWORD dst_unused:UNUSED_PAD src0_sel:DWORD src1_sel:WORD_1
	v_lshrrev_b32_e32 v77, 16, v55
	s_waitcnt vmcnt(12)
	v_mul_f16_sdwa v78, v55, v63 dst_sel:DWORD dst_unused:UNUSED_PAD src0_sel:DWORD src1_sel:WORD_1
	s_waitcnt lgkmcnt(1)
	v_lshrrev_b32_e32 v79, 16, v56
	s_waitcnt vmcnt(11)
	v_mul_f16_sdwa v80, v56, v64 dst_sel:DWORD dst_unused:UNUSED_PAD src0_sel:DWORD src1_sel:WORD_1
	v_lshrrev_b32_e32 v81, 16, v57
	s_waitcnt vmcnt(10)
	v_mul_f16_sdwa v82, v57, v65 dst_sel:DWORD dst_unused:UNUSED_PAD src0_sel:DWORD src1_sel:WORD_1
	s_waitcnt lgkmcnt(0)
	v_lshrrev_b32_e32 v83, 16, v58
	s_waitcnt vmcnt(9)
	v_mul_f16_sdwa v84, v58, v66 dst_sel:DWORD dst_unused:UNUSED_PAD src0_sel:DWORD src1_sel:WORD_1
	v_lshrrev_b32_e32 v85, 16, v59
	v_mul_f16_sdwa v87, v61, v62 dst_sel:DWORD dst_unused:UNUSED_PAD src0_sel:DWORD src1_sel:WORD_1
	v_fmac_f16_e32 v76, v61, v62
	v_mul_f16_sdwa v61, v77, v63 dst_sel:DWORD dst_unused:UNUSED_PAD src0_sel:DWORD src1_sel:WORD_1
	v_fmac_f16_e32 v78, v77, v63
	;; [unrolled: 2-line block ×3, first 2 shown]
	v_mul_f16_sdwa v79, v81, v65 dst_sel:DWORD dst_unused:UNUSED_PAD src0_sel:DWORD src1_sel:WORD_1
	s_waitcnt vmcnt(8)
	v_mul_f16_sdwa v86, v59, v67 dst_sel:DWORD dst_unused:UNUSED_PAD src0_sel:DWORD src1_sel:WORD_1
	v_fmac_f16_e32 v82, v81, v65
	v_mul_f16_sdwa v81, v83, v66 dst_sel:DWORD dst_unused:UNUSED_PAD src0_sel:DWORD src1_sel:WORD_1
	v_fmac_f16_e32 v84, v83, v66
	v_mul_f16_sdwa v83, v85, v67 dst_sel:DWORD dst_unused:UNUSED_PAD src0_sel:DWORD src1_sel:WORD_1
	v_fma_f16 v54, v54, v62, -v87
	v_fma_f16 v55, v55, v63, -v61
	;; [unrolled: 1-line block ×4, first 2 shown]
	v_fmac_f16_e32 v86, v85, v67
	v_fma_f16 v58, v58, v66, -v81
	v_fma_f16 v59, v59, v67, -v83
	v_pack_b32_f16 v54, v54, v76
	v_pack_b32_f16 v55, v55, v78
	;; [unrolled: 1-line block ×4, first 2 shown]
	v_add_nc_u32_e32 v61, 0x600, v33
	v_pack_b32_f16 v58, v58, v84
	v_pack_b32_f16 v59, v59, v86
	ds_write2_b32 v33, v54, v55 offset0:120 offset1:180
	ds_write2_b32 v60, v56, v57 offset0:112 offset1:172
	;; [unrolled: 1-line block ×3, first 2 shown]
	ds_read2_b32 v[53:54], v61 offset0:96 offset1:156
	s_waitcnt lgkmcnt(0)
	v_lshrrev_b32_e32 v55, 16, v53
	v_lshrrev_b32_e32 v56, 16, v54
	s_waitcnt vmcnt(7)
	v_mul_f16_sdwa v57, v53, v68 dst_sel:DWORD dst_unused:UNUSED_PAD src0_sel:DWORD src1_sel:WORD_1
	s_waitcnt vmcnt(6)
	v_mul_f16_sdwa v58, v54, v69 dst_sel:DWORD dst_unused:UNUSED_PAD src0_sel:DWORD src1_sel:WORD_1
	v_mul_f16_sdwa v59, v55, v68 dst_sel:DWORD dst_unused:UNUSED_PAD src0_sel:DWORD src1_sel:WORD_1
	;; [unrolled: 1-line block ×3, first 2 shown]
	v_fmac_f16_e32 v57, v55, v68
	v_fmac_f16_e32 v58, v56, v69
	v_fma_f16 v53, v53, v68, -v59
	v_fma_f16 v54, v54, v69, -v60
	v_add_nc_u32_e32 v59, 0x800, v33
	v_add_nc_u32_e32 v60, 0xc00, v33
	v_pack_b32_f16 v53, v53, v57
	v_pack_b32_f16 v54, v54, v58
	ds_write2_b32 v61, v53, v54 offset0:96 offset1:156
	ds_read2_b32 v[53:54], v59 offset0:88 offset1:148
	ds_read2_b32 v[55:56], v52 offset0:80 offset1:140
	ds_read2_b32 v[57:58], v60 offset0:72 offset1:132
	s_waitcnt lgkmcnt(2)
	v_lshrrev_b32_e32 v61, 16, v53
	s_waitcnt vmcnt(5)
	v_mul_f16_sdwa v62, v53, v70 dst_sel:DWORD dst_unused:UNUSED_PAD src0_sel:DWORD src1_sel:WORD_1
	v_lshrrev_b32_e32 v63, 16, v54
	s_waitcnt vmcnt(4)
	v_mul_f16_sdwa v64, v54, v71 dst_sel:DWORD dst_unused:UNUSED_PAD src0_sel:DWORD src1_sel:WORD_1
	s_waitcnt lgkmcnt(1)
	v_lshrrev_b32_e32 v65, 16, v55
	s_waitcnt vmcnt(3)
	v_mul_f16_sdwa v66, v55, v72 dst_sel:DWORD dst_unused:UNUSED_PAD src0_sel:DWORD src1_sel:WORD_1
	v_lshrrev_b32_e32 v67, 16, v56
	s_waitcnt vmcnt(2)
	v_mul_f16_sdwa v68, v56, v73 dst_sel:DWORD dst_unused:UNUSED_PAD src0_sel:DWORD src1_sel:WORD_1
	s_waitcnt lgkmcnt(0)
	v_lshrrev_b32_e32 v69, 16, v57
	s_waitcnt vmcnt(1)
	v_mul_f16_sdwa v76, v57, v74 dst_sel:DWORD dst_unused:UNUSED_PAD src0_sel:DWORD src1_sel:WORD_1
	v_lshrrev_b32_e32 v77, 16, v58
	v_mul_f16_sdwa v79, v61, v70 dst_sel:DWORD dst_unused:UNUSED_PAD src0_sel:DWORD src1_sel:WORD_1
	v_fmac_f16_e32 v62, v61, v70
	v_mul_f16_sdwa v61, v63, v71 dst_sel:DWORD dst_unused:UNUSED_PAD src0_sel:DWORD src1_sel:WORD_1
	v_fmac_f16_e32 v64, v63, v71
	;; [unrolled: 2-line block ×3, first 2 shown]
	v_mul_f16_sdwa v65, v67, v73 dst_sel:DWORD dst_unused:UNUSED_PAD src0_sel:DWORD src1_sel:WORD_1
	s_waitcnt vmcnt(0)
	v_mul_f16_sdwa v78, v58, v75 dst_sel:DWORD dst_unused:UNUSED_PAD src0_sel:DWORD src1_sel:WORD_1
	v_fmac_f16_e32 v68, v67, v73
	v_mul_f16_sdwa v67, v69, v74 dst_sel:DWORD dst_unused:UNUSED_PAD src0_sel:DWORD src1_sel:WORD_1
	v_fmac_f16_e32 v76, v69, v74
	v_mul_f16_sdwa v69, v77, v75 dst_sel:DWORD dst_unused:UNUSED_PAD src0_sel:DWORD src1_sel:WORD_1
	v_fma_f16 v53, v53, v70, -v79
	v_fma_f16 v54, v54, v71, -v61
	;; [unrolled: 1-line block ×4, first 2 shown]
	v_fmac_f16_e32 v78, v77, v75
	v_fma_f16 v57, v57, v74, -v67
	v_fma_f16 v58, v58, v75, -v69
	v_pack_b32_f16 v53, v53, v62
	v_pack_b32_f16 v54, v54, v64
	;; [unrolled: 1-line block ×6, first 2 shown]
	ds_write2_b32 v59, v53, v54 offset0:88 offset1:148
	ds_write2_b32 v52, v55, v56 offset0:80 offset1:140
	;; [unrolled: 1-line block ×3, first 2 shown]
.LBB0_13:
	s_or_b32 exec_lo, exec_lo, s2
	s_waitcnt lgkmcnt(0)
	s_barrier
	buffer_gl0_inv
	s_and_saveexec_b32 s1, vcc_lo
	s_cbranch_execz .LBB0_15
; %bb.14:
	v_add_nc_u32_e32 v12, 0x200, v33
	v_add_nc_u32_e32 v13, 0x400, v33
	;; [unrolled: 1-line block ×6, first 2 shown]
	ds_read2_b32 v[23:24], v33 offset1:60
	ds_read2_b32 v[25:26], v33 offset0:120 offset1:180
	ds_read2_b32 v[27:28], v12 offset0:112 offset1:172
	;; [unrolled: 1-line block ×7, first 2 shown]
	s_waitcnt lgkmcnt(7)
	v_lshrrev_b32_e32 v47, 16, v23
	v_lshrrev_b32_e32 v49, 16, v24
	s_waitcnt lgkmcnt(6)
	v_lshrrev_b32_e32 v50, 16, v25
	v_lshrrev_b32_e32 v46, 16, v26
	;; [unrolled: 3-line block ×8, first 2 shown]
.LBB0_15:
	s_or_b32 exec_lo, exec_lo, s1
	v_sub_f16_e32 v14, v23, v14
	v_sub_f16_e32 v19, v27, v19
	v_sub_f16_e32 v17, v25, v17
	v_sub_f16_e32 v21, v12, v21
	v_sub_f16_e32 v45, v47, v45
	v_sub_f16_e32 v42, v51, v42
	v_fma_f16 v23, v23, 2.0, -v14
	v_fma_f16 v27, v27, 2.0, -v19
	v_sub_f16_e32 v39, v50, v39
	v_fma_f16 v25, v25, 2.0, -v17
	v_sub_f16_e32 v43, v32, v43
	v_fma_f16 v12, v12, 2.0, -v21
	v_fma_f16 v47, v47, 2.0, -v45
	;; [unrolled: 1-line block ×4, first 2 shown]
	v_sub_f16_e32 v15, v24, v15
	v_sub_f16_e32 v44, v49, v44
	v_fma_f16 v32, v32, 2.0, -v43
	v_sub_f16_e32 v20, v28, v20
	v_sub_f16_e32 v40, v48, v40
	;; [unrolled: 1-line block ×8, first 2 shown]
	v_fma_f16 v24, v24, 2.0, -v15
	v_fma_f16 v49, v49, 2.0, -v44
	;; [unrolled: 1-line block ×7, first 2 shown]
	v_sub_f16_e32 v51, v47, v51
	v_fma_f16 v31, v31, 2.0, -v41
	v_sub_f16_e32 v19, v45, v19
	v_fma_f16 v23, v23, 2.0, -v27
	;; [unrolled: 2-line block ×3, first 2 shown]
	v_sub_f16_e32 v21, v39, v21
	v_sub_f16_e32 v20, v44, v20
	;; [unrolled: 1-line block ×3, first 2 shown]
	v_add_f16_e32 v42, v42, v14
	v_fma_f16 v47, v47, 2.0, -v51
	v_fma_f16 v45, v45, 2.0, -v19
	v_add_f16_e32 v43, v43, v17
	v_sub_f16_e32 v28, v24, v28
	v_fma_f16 v50, v50, 2.0, -v32
	v_sub_f16_e32 v48, v49, v48
	v_fma_f16 v39, v39, 2.0, -v21
	v_add_f16_e32 v40, v40, v15
	v_sub_f16_e32 v13, v26, v13
	v_sub_f16_e32 v31, v46, v31
	v_fma_f16 v44, v44, 2.0, -v20
	v_add_f16_e32 v41, v41, v18
	v_sub_f16_e32 v53, v23, v25
	v_fma_f16 v25, v38, 2.0, -v22
	v_fma_f16 v14, v14, 2.0, -v42
	;; [unrolled: 1-line block ×9, first 2 shown]
	v_sub_f16_e32 v50, v47, v50
	v_fmamk_f16 v54, v39, 0xb9a8, v45
	v_sub_f16_e32 v56, v51, v12
	v_fmamk_f16 v58, v25, 0xb9a8, v44
	v_fmamk_f16 v52, v17, 0xb9a8, v14
	v_fma_f16 v38, v47, 2.0, -v50
	v_fmac_f16_e32 v54, 0xb9a8, v17
	v_fmamk_f16 v55, v43, 0x39a8, v42
	v_fma_f16 v47, v51, 2.0, -v56
	v_fmamk_f16 v51, v18, 0xb9a8, v15
	v_sub_f16_e32 v26, v24, v26
	v_sub_f16_e32 v46, v49, v46
	v_fmac_f16_e32 v58, 0xb9a8, v18
	v_fmamk_f16 v59, v41, 0x39a8, v40
	v_sub_f16_e32 v60, v48, v13
	v_fmac_f16_e32 v52, 0x39a8, v39
	v_add_f16_e32 v39, v32, v27
	v_fmamk_f16 v57, v21, 0x39a8, v19
	v_fma_f16 v32, v45, 2.0, -v54
	v_fmac_f16_e32 v55, 0x39a8, v21
	v_fmac_f16_e32 v51, 0x39a8, v25
	v_fma_f16 v12, v24, 2.0, -v26
	v_fma_f16 v24, v49, 2.0, -v46
	v_add_f16_e32 v31, v31, v28
	v_fmamk_f16 v61, v22, 0x39a8, v20
	v_fma_f16 v13, v44, 2.0, -v58
	v_fmac_f16_e32 v59, 0x39a8, v22
	v_fma_f16 v25, v48, 2.0, -v60
	v_fma_f16 v21, v27, 2.0, -v39
	v_fmac_f16_e32 v57, 0xb9a8, v43
	v_fma_f16 v43, v42, 2.0, -v55
	v_fma_f16 v18, v15, 2.0, -v51
	;; [unrolled: 1-line block ×3, first 2 shown]
	v_fmac_f16_e32 v61, 0xb9a8, v41
	v_fma_f16 v28, v40, 2.0, -v59
	v_sub_f16_e32 v27, v38, v24
	v_fmamk_f16 v24, v13, 0xbb64, v32
	v_fmamk_f16 v41, v25, 0xb9a8, v47
	v_fma_f16 v23, v23, 2.0, -v53
	v_fma_f16 v20, v20, 2.0, -v61
	v_fmamk_f16 v40, v22, 0xb9a8, v21
	v_fmac_f16_e32 v24, 0xb61f, v18
	v_fmamk_f16 v42, v28, 0xb61f, v43
	v_fmac_f16_e32 v41, 0xb9a8, v22
	v_fma_f16 v17, v14, 2.0, -v52
	v_fma_f16 v19, v19, 2.0, -v57
	v_sub_f16_e32 v14, v23, v12
	v_fmac_f16_e32 v40, 0x39a8, v25
	v_fmac_f16_e32 v42, 0x3b64, v20
	v_fma_f16 v25, v32, 2.0, -v24
	v_fma_f16 v32, v47, 2.0, -v41
	v_sub_f16_e32 v44, v50, v26
	v_fmamk_f16 v47, v58, 0x361f, v54
	v_fmamk_f16 v15, v18, 0xbb64, v17
	v_fma_f16 v12, v23, 2.0, -v14
	v_fma_f16 v23, v38, 2.0, -v27
	v_fmamk_f16 v45, v20, 0xb61f, v19
	v_fma_f16 v18, v43, 2.0, -v42
	v_add_f16_e32 v43, v46, v53
	v_fmamk_f16 v46, v51, 0x361f, v52
	v_fma_f16 v38, v50, 2.0, -v44
	v_fmac_f16_e32 v47, 0xbb64, v51
	v_fmamk_f16 v48, v31, 0x39a8, v39
	v_fmamk_f16 v49, v60, 0x39a8, v56
	;; [unrolled: 1-line block ×4, first 2 shown]
	v_fmac_f16_e32 v15, 0x361f, v13
	v_fmac_f16_e32 v45, 0xbb64, v28
	;; [unrolled: 1-line block ×7, first 2 shown]
	v_fma_f16 v13, v17, 2.0, -v15
	v_fma_f16 v17, v21, 2.0, -v40
	;; [unrolled: 1-line block ×10, first 2 shown]
	s_barrier
	buffer_gl0_inv
	s_and_saveexec_b32 s1, vcc_lo
	s_cbranch_execz .LBB0_17
; %bb.16:
	v_mov_b32_e32 v56, 2
	v_perm_b32 v55, v26, v18, 0x5040100
	v_perm_b32 v54, v32, v17, 0x5040100
	v_perm_b32 v53, v25, v13, 0x5040100
	v_perm_b32 v52, v23, v12, 0x5040100
	v_lshlrev_b32_sdwa v37, v56, v37 dst_sel:DWORD dst_unused:UNUSED_PAD src0_sel:DWORD src1_sel:WORD_0
	v_perm_b32 v59, v28, v22, 0x5040100
	v_perm_b32 v58, v39, v21, 0x5040100
	;; [unrolled: 1-line block ×12, first 2 shown]
	ds_write_b128 v37, v[52:55]
	ds_write_b128 v37, v[56:59] offset:16
	ds_write_b128 v37, v[60:63] offset:32
	;; [unrolled: 1-line block ×3, first 2 shown]
.LBB0_17:
	s_or_b32 exec_lo, exec_lo, s1
	s_waitcnt lgkmcnt(0)
	s_barrier
	buffer_gl0_inv
	s_and_saveexec_b32 s1, s0
	s_cbranch_execz .LBB0_19
; %bb.18:
	v_add_nc_u32_e32 v14, 0x200, v33
	v_add_nc_u32_e32 v15, 0x400, v33
	;; [unrolled: 1-line block ×3, first 2 shown]
	ds_read2_b32 v[12:13], v33 offset1:96
	ds_read2_b32 v[17:18], v14 offset0:64 offset1:160
	v_add_nc_u32_e32 v14, 0xc00, v33
	ds_read2_b32 v[19:20], v15 offset0:128 offset1:224
	ds_read2_b32 v[21:22], v21 offset0:64 offset1:160
	ds_read2_b32 v[14:15], v14 offset1:96
	s_waitcnt lgkmcnt(4)
	v_lshrrev_b32_e32 v23, 16, v12
	v_lshrrev_b32_e32 v25, 16, v13
	s_waitcnt lgkmcnt(3)
	v_lshrrev_b32_e32 v32, 16, v17
	v_lshrrev_b32_e32 v26, 16, v18
	;; [unrolled: 3-line block ×5, first 2 shown]
.LBB0_19:
	s_or_b32 exec_lo, exec_lo, s1
	s_barrier
	buffer_gl0_inv
	s_and_saveexec_b32 s1, s0
	s_cbranch_execz .LBB0_21
; %bb.20:
	v_mul_f16_sdwa v37, v3, v19 dst_sel:DWORD dst_unused:UNUSED_PAD src0_sel:WORD_1 src1_sel:DWORD
	v_mul_f16_sdwa v40, v5, v21 dst_sel:DWORD dst_unused:UNUSED_PAD src0_sel:WORD_1 src1_sel:DWORD
	;; [unrolled: 1-line block ×5, first 2 shown]
	v_fma_f16 v37, v3, v38, -v37
	v_fma_f16 v40, v5, v39, -v40
	v_mul_f16_sdwa v44, v7, v27 dst_sel:DWORD dst_unused:UNUSED_PAD src0_sel:WORD_1 src1_sel:DWORD
	v_fma_f16 v32, v1, v32, -v41
	v_fmac_f16_e32 v43, v1, v17
	v_mul_f16_sdwa v17, v3, v38 dst_sel:DWORD dst_unused:UNUSED_PAD src0_sel:WORD_1 src1_sel:DWORD
	v_add_f16_e32 v41, v40, v37
	v_mul_f16_sdwa v38, v5, v39 dst_sel:DWORD dst_unused:UNUSED_PAD src0_sel:WORD_1 src1_sel:DWORD
	v_fma_f16 v27, v7, v27, -v42
	v_fmac_f16_e32 v44, v7, v14
	v_mul_f16_sdwa v42, v4, v31 dst_sel:DWORD dst_unused:UNUSED_PAD src0_sel:WORD_1 src1_sel:DWORD
	v_fma_f16 v14, -0.5, v41, v23
	v_mul_f16_sdwa v41, v2, v26 dst_sel:DWORD dst_unused:UNUSED_PAD src0_sel:WORD_1 src1_sel:DWORD
	v_fmac_f16_e32 v17, v3, v19
	v_fmac_f16_e32 v38, v5, v21
	v_mul_f16_sdwa v3, v36, v24 dst_sel:DWORD dst_unused:UNUSED_PAD src0_sel:WORD_1 src1_sel:DWORD
	v_mul_f16_sdwa v19, v4, v20 dst_sel:DWORD dst_unused:UNUSED_PAD src0_sel:WORD_1 src1_sel:DWORD
	;; [unrolled: 1-line block ×3, first 2 shown]
	v_fmac_f16_e32 v41, v2, v18
	v_fmac_f16_e32 v42, v4, v20
	v_mul_f16_sdwa v5, v6, v28 dst_sel:DWORD dst_unused:UNUSED_PAD src0_sel:WORD_1 src1_sel:DWORD
	v_fmac_f16_e32 v3, v36, v15
	v_mul_f16_sdwa v20, v6, v22 dst_sel:DWORD dst_unused:UNUSED_PAD src0_sel:WORD_1 src1_sel:DWORD
	v_fma_f16 v4, v4, v31, -v19
	v_mul_f16_sdwa v19, v0, v13 dst_sel:DWORD dst_unused:UNUSED_PAD src0_sel:WORD_1 src1_sel:DWORD
	v_fmac_f16_e32 v21, v0, v13
	v_mul_f16_sdwa v13, v2, v18 dst_sel:DWORD dst_unused:UNUSED_PAD src0_sel:WORD_1 src1_sel:DWORD
	v_mul_f16_sdwa v15, v36, v15 dst_sel:DWORD dst_unused:UNUSED_PAD src0_sel:WORD_1 src1_sel:DWORD
	v_fmac_f16_e32 v5, v6, v22
	v_fma_f16 v6, v6, v28, -v20
	v_add_f16_e32 v50, v3, v41
	v_fma_f16 v2, v2, v26, -v13
	v_fma_f16 v13, v36, v24, -v15
	;; [unrolled: 1-line block ×3, first 2 shown]
	v_add_f16_e32 v18, v6, v4
	v_add_f16_e32 v19, v5, v42
	v_sub_f16_e32 v45, v4, v6
	v_add_f16_e32 v49, v13, v2
	v_fma_f16 v50, -0.5, v50, v21
	v_fma_f16 v18, -0.5, v18, v0
	v_sub_f16_e32 v20, v41, v3
	v_fma_f16 v19, -0.5, v19, v21
	v_sub_f16_e32 v22, v2, v13
	v_fma_f16 v49, -0.5, v49, v0
	v_fmamk_f16 v57, v45, 0xbb9c, v50
	v_fmac_f16_e32 v50, 0x3b9c, v45
	v_add_f16_e32 v0, v2, v0
	v_sub_f16_e32 v39, v43, v44
	v_sub_f16_e32 v24, v2, v4
	v_sub_f16_e32 v25, v13, v6
	v_fmamk_f16 v26, v20, 0xbb9c, v18
	v_sub_f16_e32 v28, v42, v5
	v_fmamk_f16 v36, v22, 0x3b9c, v19
	v_add_f16_e32 v47, v27, v32
	v_fmac_f16_e32 v57, 0x38b4, v22
	v_fmac_f16_e32 v50, 0xb8b4, v22
	;; [unrolled: 1-line block ×4, first 2 shown]
	v_add_f16_e32 v22, v32, v23
	v_add_f16_e32 v0, v4, v0
	v_sub_f16_e32 v1, v32, v37
	v_sub_f16_e32 v7, v27, v40
	v_add_f16_e32 v24, v25, v24
	v_fmac_f16_e32 v26, 0xb8b4, v28
	v_fmamk_f16 v25, v39, 0xbb9c, v14
	v_sub_f16_e32 v46, v17, v38
	v_fma_f16 v47, -0.5, v47, v23
	v_sub_f16_e32 v54, v4, v2
	v_sub_f16_e32 v55, v6, v13
	v_fmac_f16_e32 v18, 0x38b4, v28
	v_fmac_f16_e32 v14, 0x3b9c, v39
	v_add_f16_e32 v2, v37, v22
	v_add_f16_e32 v0, v6, v0
	;; [unrolled: 1-line block ×4, first 2 shown]
	v_sub_f16_e32 v15, v41, v42
	v_sub_f16_e32 v31, v3, v5
	;; [unrolled: 1-line block ×4, first 2 shown]
	v_fmamk_f16 v56, v28, 0x3b9c, v49
	v_fmac_f16_e32 v49, 0xbb9c, v28
	v_fmac_f16_e32 v26, 0x34f2, v24
	v_add_f16_e32 v1, v7, v1
	v_fmac_f16_e32 v25, 0xb8b4, v46
	v_fmamk_f16 v58, v46, 0x3b9c, v47
	v_fmac_f16_e32 v47, 0xbb9c, v46
	v_fmac_f16_e32 v18, 0x34f2, v24
	;; [unrolled: 1-line block ×3, first 2 shown]
	v_add_f16_e32 v2, v40, v2
	v_fma_f16 v6, -0.5, v6, v12
	v_sub_f16_e32 v24, v32, v27
	v_fma_f16 v23, -0.5, v23, v12
	v_add_f16_e32 v12, v43, v12
	v_add_f16_e32 v21, v41, v21
	;; [unrolled: 1-line block ×3, first 2 shown]
	v_fmac_f16_e32 v36, 0x38b4, v45
	v_add_f16_e32 v52, v53, v52
	v_add_f16_e32 v53, v55, v54
	v_fmac_f16_e32 v56, 0xb8b4, v20
	v_fmac_f16_e32 v49, 0x38b4, v20
	v_sub_f16_e32 v28, v37, v40
	v_fmac_f16_e32 v25, 0x34f2, v1
	v_sub_f16_e32 v48, v37, v32
	v_sub_f16_e32 v51, v40, v27
	v_fmac_f16_e32 v58, 0xb8b4, v39
	v_fmac_f16_e32 v47, 0x38b4, v39
	;; [unrolled: 1-line block ×4, first 2 shown]
	v_add_f16_e32 v1, v27, v2
	v_sub_f16_e32 v27, v43, v17
	v_sub_f16_e32 v32, v44, v38
	v_fmamk_f16 v37, v24, 0x3b9c, v6
	v_sub_f16_e32 v39, v17, v43
	v_fmac_f16_e32 v6, 0xbb9c, v24
	v_add_f16_e32 v12, v17, v12
	v_add_f16_e32 v17, v42, v21
	v_fmac_f16_e32 v36, 0x34f2, v15
	v_mul_f16_e32 v7, 0xba79, v26
	v_fmac_f16_e32 v56, 0x34f2, v53
	v_fmac_f16_e32 v49, 0x34f2, v53
	v_sub_f16_e32 v40, v38, v44
	v_fmamk_f16 v45, v28, 0xbb9c, v23
	v_mul_f16_e32 v26, 0xb8b4, v26
	v_fmac_f16_e32 v23, 0x3b9c, v28
	v_fmac_f16_e32 v19, 0x34f2, v15
	v_mul_f16_e32 v4, 0x3a79, v18
	v_add_f16_e32 v27, v32, v27
	v_fmac_f16_e32 v6, 0xb8b4, v28
	v_mul_f16_e32 v18, 0xb8b4, v18
	v_add_f16_e32 v12, v38, v12
	v_add_f16_e32 v5, v5, v17
	v_fmac_f16_e32 v7, 0x38b4, v36
	v_add_f16_e32 v48, v51, v48
	v_fmac_f16_e32 v57, 0x34f2, v52
	v_mul_f16_e32 v51, 0xb4f2, v56
	v_fmac_f16_e32 v50, 0x34f2, v52
	v_mul_f16_e32 v20, 0x34f2, v49
	v_add_f16_e32 v32, v40, v39
	v_fmac_f16_e32 v45, 0x38b4, v24
	v_fmac_f16_e32 v26, 0xba79, v36
	v_mul_f16_e32 v36, 0xbb9c, v56
	v_fmac_f16_e32 v23, 0xb8b4, v24
	v_mul_f16_e32 v21, 0xbb9c, v49
	v_fmac_f16_e32 v37, 0x38b4, v28
	v_fmac_f16_e32 v4, 0x38b4, v19
	v_add_f16_e32 v0, v13, v0
	v_fmac_f16_e32 v6, 0x34f2, v27
	v_fmac_f16_e32 v18, 0x3a79, v19
	v_add_f16_e32 v12, v44, v12
	v_add_f16_e32 v3, v3, v5
	v_mul_u32_u24_e32 v28, 0xa0, v29
	v_fmac_f16_e32 v58, 0x34f2, v48
	v_fmac_f16_e32 v51, 0x3b9c, v57
	;; [unrolled: 1-line block ×9, first 2 shown]
	v_sub_f16_e32 v15, v14, v4
	v_sub_f16_e32 v22, v1, v0
	;; [unrolled: 1-line block ×4, first 2 shown]
	v_add_f16_e32 v4, v14, v4
	v_add_f16_e32 v0, v1, v0
	v_or_b32_e32 v14, v28, v35
	v_add_f16_e32 v3, v12, v3
	v_add_f16_e32 v6, v6, v18
	v_sub_f16_e32 v31, v25, v7
	v_sub_f16_e32 v13, v47, v20
	v_add_f16_e32 v7, v25, v7
	v_add_f16_e32 v25, v58, v51
	;; [unrolled: 1-line block ×6, first 2 shown]
	v_sub_f16_e32 v19, v23, v21
	v_sub_f16_e32 v2, v58, v51
	;; [unrolled: 1-line block ×4, first 2 shown]
	v_lshlrev_b32_e32 v14, 2, v14
	v_pack_b32_f16 v0, v3, v0
	v_pack_b32_f16 v3, v6, v4
	;; [unrolled: 1-line block ×10, first 2 shown]
	ds_write2_b32 v14, v0, v3 offset1:16
	ds_write2_b32 v14, v4, v6 offset0:32 offset1:48
	ds_write2_b32 v14, v1, v7 offset0:64 offset1:80
	;; [unrolled: 1-line block ×4, first 2 shown]
.LBB0_21:
	s_or_b32 exec_lo, exec_lo, s1
	s_waitcnt lgkmcnt(0)
	s_barrier
	buffer_gl0_inv
	v_add_nc_u32_e32 v0, 0x400, v33
	ds_read2_b32 v[1:2], v33 offset1:160
	v_add_nc_u32_e32 v6, 0xa00, v33
	ds_read2_b32 v[3:4], v0 offset0:64 offset1:224
	ds_read2_b32 v[12:13], v6 offset1:160
	s_waitcnt lgkmcnt(2)
	v_lshrrev_b32_e32 v7, 16, v2
	v_mul_f16_sdwa v14, v8, v2 dst_sel:DWORD dst_unused:UNUSED_PAD src0_sel:WORD_1 src1_sel:DWORD
	v_lshrrev_b32_e32 v5, 16, v1
	s_waitcnt lgkmcnt(1)
	v_lshrrev_b32_e32 v15, 16, v3
	v_lshrrev_b32_e32 v17, 16, v4
	s_waitcnt lgkmcnt(0)
	v_lshrrev_b32_e32 v18, 16, v12
	v_mul_f16_sdwa v20, v8, v7 dst_sel:DWORD dst_unused:UNUSED_PAD src0_sel:WORD_1 src1_sel:DWORD
	v_fma_f16 v7, v8, v7, -v14
	v_mul_f16_sdwa v14, v9, v3 dst_sel:DWORD dst_unused:UNUSED_PAD src0_sel:WORD_1 src1_sel:DWORD
	v_mul_f16_sdwa v21, v10, v4 dst_sel:DWORD dst_unused:UNUSED_PAD src0_sel:WORD_1 src1_sel:DWORD
	v_lshrrev_b32_e32 v19, 16, v13
	v_fmac_f16_e32 v20, v8, v2
	v_mul_f16_sdwa v2, v9, v15 dst_sel:DWORD dst_unused:UNUSED_PAD src0_sel:WORD_1 src1_sel:DWORD
	v_fma_f16 v8, v9, v15, -v14
	v_mul_f16_sdwa v14, v10, v17 dst_sel:DWORD dst_unused:UNUSED_PAD src0_sel:WORD_1 src1_sel:DWORD
	v_fma_f16 v15, v10, v17, -v21
	v_mul_f16_sdwa v17, v11, v18 dst_sel:DWORD dst_unused:UNUSED_PAD src0_sel:WORD_1 src1_sel:DWORD
	v_mul_f16_sdwa v22, v11, v12 dst_sel:DWORD dst_unused:UNUSED_PAD src0_sel:WORD_1 src1_sel:DWORD
	;; [unrolled: 1-line block ×3, first 2 shown]
	v_fmac_f16_e32 v2, v9, v3
	v_mul_f16_sdwa v21, v30, v19 dst_sel:DWORD dst_unused:UNUSED_PAD src0_sel:WORD_1 src1_sel:DWORD
	v_fmac_f16_e32 v17, v11, v12
	v_fma_f16 v18, v11, v18, -v22
	v_fma_f16 v19, v30, v19, -v23
	v_fmac_f16_e32 v14, v10, v4
	v_fmac_f16_e32 v21, v30, v13
	v_add_f16_e32 v11, v2, v17
	v_sub_f16_e32 v3, v8, v18
	v_add_f16_e32 v4, v5, v8
	v_add_f16_e32 v8, v8, v18
	;; [unrolled: 1-line block ×4, first 2 shown]
	v_fmac_f16_e32 v1, -0.5, v11
	v_add_f16_e32 v9, v7, v15
	v_fmac_f16_e32 v5, -0.5, v8
	v_sub_f16_e32 v2, v2, v17
	v_add_f16_e32 v8, v14, v21
	v_fmac_f16_e32 v7, -0.5, v10
	v_add_f16_e32 v10, v12, v17
	v_fmamk_f16 v12, v3, 0xbaee, v1
	v_fmac_f16_e32 v1, 0x3aee, v3
	v_sub_f16_e32 v3, v14, v21
	v_fmamk_f16 v11, v2, 0x3aee, v5
	v_add_f16_e32 v13, v20, v14
	v_fmac_f16_e32 v20, -0.5, v8
	v_sub_f16_e32 v8, v15, v19
	v_fmac_f16_e32 v5, 0xbaee, v2
	v_fmamk_f16 v2, v3, 0x3aee, v7
	v_fmac_f16_e32 v7, 0xbaee, v3
	v_add_f16_e32 v3, v13, v21
	v_fmamk_f16 v13, v8, 0xbaee, v20
	v_fmac_f16_e32 v20, 0x3aee, v8
	v_mul_f16_e32 v8, 0xbaee, v2
	v_mul_f16_e32 v2, 0.5, v2
	v_mul_f16_e32 v14, 0xbaee, v7
	v_mul_f16_e32 v7, -0.5, v7
	v_add_f16_e32 v4, v4, v18
	v_add_f16_e32 v9, v9, v19
	v_fmac_f16_e32 v8, 0.5, v13
	v_fmac_f16_e32 v2, 0x3aee, v13
	v_fmac_f16_e32 v14, -0.5, v20
	v_fmac_f16_e32 v7, 0x3aee, v20
	v_add_f16_e32 v15, v10, v3
	v_add_f16_e32 v13, v12, v8
	;; [unrolled: 1-line block ×6, first 2 shown]
	v_sub_f16_e32 v3, v10, v3
	v_sub_f16_e32 v4, v4, v9
	;; [unrolled: 1-line block ×6, first 2 shown]
	v_pack_b32_f16 v7, v15, v18
	v_pack_b32_f16 v9, v13, v19
	v_pack_b32_f16 v10, v17, v20
	v_pack_b32_f16 v3, v3, v4
	v_pack_b32_f16 v2, v8, v2
	v_pack_b32_f16 v1, v1, v5
	ds_write2_b32 v33, v7, v9 offset1:160
	ds_write2_b32 v0, v10, v3 offset0:64 offset1:224
	ds_write2_b32 v6, v2, v1 offset1:160
	s_waitcnt lgkmcnt(0)
	s_barrier
	buffer_gl0_inv
	s_and_b32 exec_lo, exec_lo, vcc_lo
	s_cbranch_execz .LBB0_23
; %bb.22:
	s_clause 0x5
	global_load_dword v4, v33, s[10:11]
	global_load_dword v5, v33, s[10:11] offset:240
	global_load_dword v11, v33, s[10:11] offset:480
	;; [unrolled: 1-line block ×5, first 2 shown]
	ds_read_b32 v26, v33
	v_mad_u64_u32 v[17:18], null, s4, v34, 0
	ds_read2_b32 v[19:20], v33 offset0:60 offset1:120
	v_add_co_u32 v9, s0, s10, v33
	ds_read2_b32 v[21:22], v33 offset0:180 offset1:240
	ds_read2_b32 v[2:3], v0 offset0:44 offset1:104
	ds_read_b32 v7, v33 offset:1920
	v_mad_u64_u32 v[14:15], null, s6, v16, 0
	v_mov_b32_e32 v8, v18
	s_mov_b32 s20, 0x11111111
	v_add_co_ci_u32_e64 v10, null, s11, 0, s0
	s_mov_b32 s21, 0x3f511111
	v_mad_u64_u32 v[23:24], null, s5, v34, v[8:9]
	v_mov_b32_e32 v1, v15
	v_add_co_u32 v0, vcc_lo, 0x800, v9
	s_waitcnt lgkmcnt(4)
	v_lshrrev_b32_e32 v24, 16, v26
	s_mul_i32 s0, s5, 0xf0
	s_mul_hi_u32 s22, s4, 0xf0
	v_mov_b32_e32 v18, v23
	s_waitcnt lgkmcnt(3)
	v_lshrrev_b32_e32 v23, 16, v19
	v_lshrrev_b32_e32 v27, 16, v20
	s_waitcnt lgkmcnt(1)
	v_mad_u64_u32 v[15:16], null, s7, v16, v[1:2]
	v_lshrrev_b32_e32 v28, 16, v21
	v_lshlrev_b64 v[16:17], 2, v[17:18]
	v_lshrrev_b32_e32 v18, 16, v22
	v_lshrrev_b32_e32 v40, 16, v2
	v_add_co_ci_u32_e32 v1, vcc_lo, 0, v10, vcc_lo
	v_lshlrev_b64 v[14:15], 2, v[14:15]
	s_mul_i32 s19, s4, 0xf0
	s_add_i32 s22, s22, s0
	s_clause 0x3
	global_load_dword v13, v33, s[10:11] offset:1440
	global_load_dword v10, v33, s[10:11] offset:1680
	;; [unrolled: 1-line block ×3, first 2 shown]
	global_load_dword v8, v[0:1], off offset:112
	v_add_co_u32 v14, vcc_lo, s8, v14
	v_add_co_ci_u32_e32 v15, vcc_lo, s9, v15, vcc_lo
	v_add_co_u32 v14, vcc_lo, v14, v16
	v_add_co_ci_u32_e32 v15, vcc_lo, v15, v17, vcc_lo
	;; [unrolled: 2-line block ×3, first 2 shown]
	s_waitcnt vmcnt(9)
	v_mul_f16_sdwa v29, v24, v4 dst_sel:DWORD dst_unused:UNUSED_PAD src0_sel:DWORD src1_sel:WORD_1
	v_mul_f16_sdwa v30, v26, v4 dst_sel:DWORD dst_unused:UNUSED_PAD src0_sel:DWORD src1_sel:WORD_1
	s_waitcnt vmcnt(8)
	v_mul_f16_sdwa v31, v23, v5 dst_sel:DWORD dst_unused:UNUSED_PAD src0_sel:DWORD src1_sel:WORD_1
	v_mul_f16_sdwa v34, v19, v5 dst_sel:DWORD dst_unused:UNUSED_PAD src0_sel:DWORD src1_sel:WORD_1
	s_waitcnt vmcnt(7)
	v_mul_f16_sdwa v35, v27, v11 dst_sel:DWORD dst_unused:UNUSED_PAD src0_sel:DWORD src1_sel:WORD_1
	v_fmac_f16_e32 v29, v26, v4
	v_mul_f16_sdwa v36, v20, v11 dst_sel:DWORD dst_unused:UNUSED_PAD src0_sel:DWORD src1_sel:WORD_1
	v_fma_f16 v4, v4, v24, -v30
	v_fmac_f16_e32 v31, v19, v5
	v_fma_f16 v19, v5, v23, -v34
	v_cvt_f32_f16_e32 v5, v29
	s_waitcnt vmcnt(6)
	v_mul_f16_sdwa v37, v28, v12 dst_sel:DWORD dst_unused:UNUSED_PAD src0_sel:DWORD src1_sel:WORD_1
	v_mul_f16_sdwa v38, v21, v12 dst_sel:DWORD dst_unused:UNUSED_PAD src0_sel:DWORD src1_sel:WORD_1
	s_waitcnt vmcnt(5)
	v_mul_f16_sdwa v39, v18, v25 dst_sel:DWORD dst_unused:UNUSED_PAD src0_sel:DWORD src1_sel:WORD_1
	v_mul_f16_sdwa v41, v22, v25 dst_sel:DWORD dst_unused:UNUSED_PAD src0_sel:DWORD src1_sel:WORD_1
	v_fmac_f16_e32 v35, v20, v11
	v_fma_f16 v20, v11, v27, -v36
	v_cvt_f32_f16_e32 v11, v4
	v_cvt_f64_f32_e32 v[4:5], v5
	v_fmac_f16_e32 v37, v21, v12
	v_fma_f16 v23, v12, v28, -v38
	v_fmac_f16_e32 v39, v22, v25
	v_fma_f16 v22, v25, v18, -v41
	v_cvt_f64_f32_e32 v[11:12], v11
	v_cvt_f32_f16_e32 v18, v31
	s_waitcnt vmcnt(4)
	v_mul_f16_sdwa v42, v40, v32 dst_sel:DWORD dst_unused:UNUSED_PAD src0_sel:DWORD src1_sel:WORD_1
	v_cvt_f32_f16_e32 v21, v19
	v_mul_f16_sdwa v43, v2, v32 dst_sel:DWORD dst_unused:UNUSED_PAD src0_sel:DWORD src1_sel:WORD_1
	v_cvt_f32_f16_e32 v24, v20
	v_cvt_f64_f32_e32 v[18:19], v18
	v_fmac_f16_e32 v42, v2, v32
	v_cvt_f32_f16_e32 v2, v35
	v_cvt_f64_f32_e32 v[20:21], v21
	v_cvt_f32_f16_e32 v28, v23
	v_cvt_f32_f16_e32 v34, v22
	;; [unrolled: 1-line block ×3, first 2 shown]
	v_cvt_f64_f32_e32 v[22:23], v2
	v_cvt_f32_f16_e32 v26, v37
	v_cvt_f64_f32_e32 v[24:25], v24
	v_fma_f16 v2, v32, v40, -v43
	v_mul_f64 v[38:39], v[4:5], s[20:21]
	v_cvt_f64_f32_e32 v[28:29], v28
	v_cvt_f64_f32_e32 v[26:27], v26
	v_cvt_f64_f32_e32 v[30:31], v30
	v_cvt_f32_f16_e32 v2, v2
	v_mul_f64 v[11:12], v[11:12], s[20:21]
	v_add_co_u32 v40, vcc_lo, v16, s19
	v_add_co_ci_u32_e32 v41, vcc_lo, s22, v17, vcc_lo
	v_cvt_f32_f16_e32 v36, v42
	v_mul_f64 v[18:19], v[18:19], s[20:21]
	v_cvt_f64_f32_e32 v[42:43], v2
	v_cvt_f64_f32_e32 v[34:35], v34
	v_mul_f64 v[20:21], v[20:21], s[20:21]
	v_add_co_u32 v4, vcc_lo, v40, s19
	v_add_co_ci_u32_e32 v5, vcc_lo, s22, v41, vcc_lo
	v_mul_f64 v[22:23], v[22:23], s[20:21]
	v_mul_f64 v[24:25], v[24:25], s[20:21]
	v_cvt_f64_f32_e32 v[36:37], v36
	v_and_or_b32 v2, 0x1ff, v39, v38
	v_mul_f64 v[28:29], v[28:29], s[20:21]
	v_mul_f64 v[26:27], v[26:27], s[20:21]
	;; [unrolled: 1-line block ×3, first 2 shown]
	v_lshrrev_b32_e32 v32, 8, v39
	v_and_or_b32 v11, 0x1ff, v12, v11
	v_cmp_ne_u32_e32 vcc_lo, 0, v2
	v_bfe_u32 v38, v39, 20, 11
	v_lshrrev_b32_e32 v44, 8, v12
	v_bfe_u32 v45, v12, 20, 11
	v_lshrrev_b32_e32 v39, 16, v39
	v_and_or_b32 v18, 0x1ff, v19, v18
	v_cndmask_b32_e64 v2, 0, 1, vcc_lo
	v_cmp_ne_u32_e32 vcc_lo, 0, v11
	v_and_or_b32 v20, 0x1ff, v21, v20
	v_mul_f64 v[34:35], v[34:35], s[20:21]
	v_lshrrev_b32_e32 v46, 8, v19
	v_and_or_b32 v2, 0xffe, v32, v2
	v_cndmask_b32_e64 v11, 0, 1, vcc_lo
	v_cmp_ne_u32_e32 vcc_lo, 0, v18
	v_and_or_b32 v22, 0x1ff, v23, v22
	v_and_or_b32 v24, 0x1ff, v25, v24
	v_mul_f64 v[36:37], v[36:37], s[20:21]
	v_and_or_b32 v28, 0x1ff, v29, v28
	v_cndmask_b32_e64 v18, 0, 1, vcc_lo
	v_cmp_ne_u32_e32 vcc_lo, 0, v20
	v_and_or_b32 v26, 0x1ff, v27, v26
	v_and_or_b32 v30, 0x1ff, v31, v30
	v_bfe_u32 v47, v19, 20, 11
	v_sub_nc_u32_e32 v64, 0x3f1, v38
	v_cndmask_b32_e64 v20, 0, 1, vcc_lo
	v_cmp_ne_u32_e32 vcc_lo, 0, v22
	v_add_nc_u32_e32 v38, 0xfffffc10, v38
	v_and_or_b32 v11, 0xffe, v44, v11
	v_lshrrev_b32_e32 v48, 8, v21
	v_bfe_u32 v49, v21, 20, 11
	v_cndmask_b32_e64 v22, 0, 1, vcc_lo
	v_cmp_ne_u32_e32 vcc_lo, 0, v24
	v_and_or_b32 v34, 0x1ff, v35, v34
	v_bfe_u32 v51, v23, 20, 11
	v_sub_nc_u32_e32 v65, 0x3f1, v45
	v_add_nc_u32_e32 v45, 0xfffffc10, v45
	v_cndmask_b32_e64 v24, 0, 1, vcc_lo
	v_cmp_ne_u32_e32 vcc_lo, 0, v26
	v_and_or_b32 v36, 0x1ff, v37, v36
	v_lshrrev_b32_e32 v62, 8, v37
	v_sub_nc_u32_e32 v66, 0x3f1, v47
	v_med3_i32 v32, v64, 0, 13
	v_cndmask_b32_e64 v26, 0, 1, vcc_lo
	v_cmp_ne_u32_e32 vcc_lo, 0, v28
	v_and_or_b32 v18, 0xffe, v46, v18
	v_lshl_or_b32 v64, v38, 12, v2
	v_lshrrev_b32_e32 v50, 8, v23
	v_bfe_u32 v53, v25, 20, 11
	v_cndmask_b32_e64 v28, 0, 1, vcc_lo
	v_cmp_ne_u32_e32 vcc_lo, 0, v30
	v_bfe_u32 v55, v27, 20, 11
	v_add_nc_u32_e32 v47, 0xfffffc10, v47
	v_sub_nc_u32_e32 v67, 0x3f1, v49
	v_sub_nc_u32_e32 v68, 0x3f1, v51
	v_cndmask_b32_e64 v30, 0, 1, vcc_lo
	v_cmp_ne_u32_e32 vcc_lo, 0, v34
	v_med3_i32 v44, v65, 0, 13
	v_med3_i32 v46, v66, 0, 13
	v_and_or_b32 v20, 0xffe, v48, v20
	v_or_b32_e32 v65, 0x1000, v11
	v_cndmask_b32_e64 v34, 0, 1, vcc_lo
	v_cmp_ne_u32_e32 vcc_lo, 0, v36
	v_lshl_or_b32 v66, v45, 12, v11
	v_lshrrev_b32_e32 v52, 8, v25
	v_lshrrev_b32_e32 v54, 8, v27
	v_bfe_u32 v57, v29, 20, 11
	v_cndmask_b32_e64 v36, 0, 1, vcc_lo
	v_cmp_ne_u32_e32 vcc_lo, 0, v2
	v_bfe_u32 v59, v31, 20, 11
	v_add_nc_u32_e32 v49, 0xfffffc10, v49
	v_sub_nc_u32_e32 v69, 0x3f1, v53
	v_and_or_b32 v36, 0xffe, v62, v36
	v_or_b32_e32 v62, 0x1000, v2
	v_cndmask_b32_e64 v2, 0, 1, vcc_lo
	v_cmp_ne_u32_e32 vcc_lo, 0, v11
	v_sub_nc_u32_e32 v70, 0x3f1, v55
	v_med3_i32 v48, v67, 0, 13
	v_and_or_b32 v22, 0xffe, v50, v22
	v_med3_i32 v50, v68, 0, 13
	v_cndmask_b32_e64 v11, 0, 1, vcc_lo
	v_cmp_ne_u32_e32 vcc_lo, 0, v18
	v_or_b32_e32 v67, 0x1000, v18
	v_lshl_or_b32 v68, v47, 12, v18
	v_lshrrev_b32_e32 v56, 8, v29
	v_lshrrev_b32_e32 v58, 8, v31
	v_cndmask_b32_e64 v18, 0, 1, vcc_lo
	v_cmp_ne_u32_e32 vcc_lo, 0, v20
	v_bfe_u32 v61, v35, 20, 11
	v_add_nc_u32_e32 v51, 0xfffffc10, v51
	v_sub_nc_u32_e32 v71, 0x3f1, v57
	v_sub_nc_u32_e32 v72, 0x3f1, v59
	v_and_or_b32 v24, 0xffe, v52, v24
	v_med3_i32 v52, v69, 0, 13
	v_and_or_b32 v26, 0xffe, v54, v26
	v_med3_i32 v54, v70, 0, 13
	v_or_b32_e32 v69, 0x1000, v20
	v_lshl_or_b32 v70, v49, 12, v20
	v_cndmask_b32_e64 v20, 0, 1, vcc_lo
	v_cmp_ne_u32_e32 vcc_lo, 0, v22
	v_lshrrev_b32_e32 v60, 8, v35
	v_add_nc_u32_e32 v53, 0xfffffc10, v53
	v_sub_nc_u32_e32 v73, 0x3f1, v61
	v_and_or_b32 v28, 0xffe, v56, v28
	v_med3_i32 v56, v71, 0, 13
	v_and_or_b32 v30, 0xffe, v58, v30
	v_med3_i32 v58, v72, 0, 13
	v_or_b32_e32 v71, 0x1000, v22
	v_lshl_or_b32 v72, v51, 12, v22
	v_cndmask_b32_e64 v22, 0, 1, vcc_lo
	v_cmp_ne_u32_e32 vcc_lo, 0, v24
	v_add_nc_u32_e32 v55, 0xfffffc10, v55
	v_and_or_b32 v34, 0xffe, v60, v34
	v_med3_i32 v60, v73, 0, 13
	v_or_b32_e32 v73, 0x1000, v24
	v_lshl_or_b32 v75, v53, 12, v24
	v_cndmask_b32_e64 v24, 0, 1, vcc_lo
	v_cmp_ne_u32_e32 vcc_lo, 0, v26
	v_add_nc_u32_e32 v57, 0xfffffc10, v57
	v_or_b32_e32 v76, 0x1000, v26
	v_lshl_or_b32 v77, v55, 12, v26
	v_lshrrev_b32_e32 v83, v44, v65
	v_cndmask_b32_e64 v26, 0, 1, vcc_lo
	v_cmp_ne_u32_e32 vcc_lo, 0, v28
	v_add_nc_u32_e32 v59, 0xfffffc10, v59
	v_or_b32_e32 v78, 0x1000, v28
	v_lshl_or_b32 v79, v57, 12, v28
	v_lshrrev_b32_e32 v85, v32, v62
	v_cndmask_b32_e64 v28, 0, 1, vcc_lo
	v_cmp_ne_u32_e32 vcc_lo, 0, v30
	v_lshlrev_b32_e32 v44, v44, v83
	v_lshrrev_b32_e32 v86, v46, v67
	v_lshrrev_b32_e32 v87, v48, v69
	v_or_b32_e32 v80, 0x1000, v30
	v_lshl_or_b32 v81, v59, 12, v30
	v_cndmask_b32_e64 v30, 0, 1, vcc_lo
	v_cmp_ne_u32_e32 vcc_lo, v44, v65
	v_lshlrev_b32_e32 v48, v48, v87
	v_lshrrev_b32_e32 v65, v50, v71
	v_lshlrev_b32_e32 v32, v32, v85
	v_lshlrev_b32_e32 v46, v46, v86
	v_lshrrev_b32_e32 v44, v52, v73
	v_cmp_ne_u32_e64 s0, v48, v69
	v_lshrrev_b32_e32 v48, v54, v76
	v_lshlrev_b32_e32 v50, v50, v65
	v_cmp_ne_u32_e64 s2, v32, v62
	v_cndmask_b32_e64 v62, 0, 1, vcc_lo
	v_cmp_ne_u32_e32 vcc_lo, v46, v67
	v_lshlrev_b32_e32 v52, v52, v44
	v_lshrrev_b32_e32 v69, v56, v78
	v_lshlrev_b32_e32 v54, v54, v48
	v_or_b32_e32 v82, 0x1000, v34
	v_cndmask_b32_e64 v46, 0, 1, vcc_lo
	v_cmp_ne_u32_e32 vcc_lo, v50, v71
	v_cmp_ne_u32_e64 s1, v52, v73
	v_lshrrev_b32_e32 v52, v58, v80
	v_lshlrev_b32_e32 v56, v56, v69
	v_lshrrev_b32_e32 v73, v60, v82
	v_cndmask_b32_e64 v50, 0, 1, vcc_lo
	v_cmp_ne_u32_e32 vcc_lo, v54, v76
	v_lshlrev_b32_e32 v58, v58, v52
	v_cndmask_b32_e64 v32, 0, 1, s2
	v_lshlrev_b32_e32 v60, v60, v73
	v_or_b32_e32 v62, v83, v62
	v_cndmask_b32_e64 v54, 0, 1, vcc_lo
	v_cmp_ne_u32_e32 vcc_lo, v56, v78
	v_or_b32_e32 v32, v85, v32
	v_cndmask_b32_e64 v67, 0, 1, s0
	v_or_b32_e32 v46, v86, v46
	v_cndmask_b32_e64 v71, 0, 1, s1
	v_cndmask_b32_e64 v56, 0, 1, vcc_lo
	v_cmp_ne_u32_e32 vcc_lo, v58, v80
	v_or_b32_e32 v67, v87, v67
	v_or_b32_e32 v50, v65, v50
	;; [unrolled: 1-line block ×4, first 2 shown]
	v_cndmask_b32_e64 v58, 0, 1, vcc_lo
	v_cmp_ne_u32_e32 vcc_lo, v60, v82
	v_or_b32_e32 v44, v44, v71
	v_add_nc_u32_e32 v61, 0xfffffc10, v61
	v_lshl_or_b32 v2, v2, 9, 0x7c00
	v_or_b32_e32 v52, v52, v58
	v_cndmask_b32_e64 v60, 0, 1, vcc_lo
	v_cmp_gt_i32_e32 vcc_lo, 1, v38
	v_lshl_or_b32 v84, v61, 12, v34
	v_lshl_or_b32 v11, v11, 9, 0x7c00
	;; [unrolled: 1-line block ×3, first 2 shown]
	v_or_b32_e32 v56, v73, v60
	v_cndmask_b32_e32 v32, v64, v32, vcc_lo
	v_cmp_gt_i32_e32 vcc_lo, 1, v45
	v_lshl_or_b32 v20, v20, 9, 0x7c00
	v_lshl_or_b32 v22, v22, 9, 0x7c00
	v_lshrrev_b32_e32 v12, 16, v12
	v_lshrrev_b32_e32 v19, 16, v19
	v_cndmask_b32_e32 v58, v66, v62, vcc_lo
	v_cmp_gt_i32_e32 vcc_lo, 1, v47
	v_and_b32_e32 v62, 7, v32
	v_lshrrev_b32_e32 v32, 2, v32
	v_lshl_or_b32 v24, v24, 9, 0x7c00
	v_and_b32_e32 v64, 7, v58
	v_cndmask_b32_e32 v46, v68, v46, vcc_lo
	v_cmp_gt_i32_e32 vcc_lo, 1, v49
	v_cmp_eq_u32_e64 s0, 3, v62
	v_lshrrev_b32_e32 v58, 2, v58
	v_cmp_lt_i32_e64 s1, 5, v64
	v_and_b32_e32 v65, 7, v46
	v_cndmask_b32_e32 v60, v70, v67, vcc_lo
	v_cmp_gt_i32_e32 vcc_lo, 1, v51
	v_cmp_eq_u32_e64 s2, 3, v64
	v_lshrrev_b32_e32 v46, 2, v46
	v_cmp_lt_i32_e64 s3, 5, v65
	;; [unrolled: 6-line block ×7, first 2 shown]
	v_cmp_eq_u32_e64 s14, 3, v70
	v_cndmask_b32_e32 v56, v84, v56, vcc_lo
	v_cmp_lt_i32_e32 vcc_lo, 5, v62
	v_lshrrev_b32_e32 v21, 16, v21
	v_lshl_or_b32 v26, v26, 9, 0x7c00
	v_and_b32_e32 v71, 7, v52
	v_lshl_or_b32 v28, v28, 9, 0x7c00
	s_or_b32 vcc_lo, s0, vcc_lo
	v_lshrrev_b32_e32 v52, 2, v52
	v_add_co_ci_u32_e32 v32, vcc_lo, 0, v32, vcc_lo
	s_or_b32 vcc_lo, s2, s1
	v_cmp_lt_i32_e64 s15, 5, v71
	v_add_co_ci_u32_e32 v58, vcc_lo, 0, v58, vcc_lo
	s_or_b32 vcc_lo, s4, s3
	v_cmp_eq_u32_e64 s16, 3, v71
	v_add_co_ci_u32_e32 v46, vcc_lo, 0, v46, vcc_lo
	s_or_b32 vcc_lo, s6, s5
	v_and_b32_e32 v72, 7, v56
	v_add_co_ci_u32_e32 v60, vcc_lo, 0, v60, vcc_lo
	s_or_b32 vcc_lo, s8, s7
	v_bfe_u32 v63, v37, 20, 11
	v_add_co_ci_u32_e32 v50, vcc_lo, 0, v50, vcc_lo
	s_or_b32 vcc_lo, s10, s9
	v_cmp_lt_i32_e64 s17, 5, v72
	v_add_co_ci_u32_e32 v44, vcc_lo, 0, v44, vcc_lo
	s_or_b32 vcc_lo, s12, s11
	v_cmp_eq_u32_e64 s18, 3, v72
	v_add_co_ci_u32_e32 v48, vcc_lo, 0, v48, vcc_lo
	s_or_b32 vcc_lo, s14, s13
	v_sub_nc_u32_e32 v74, 0x3f1, v63
	v_add_co_ci_u32_e32 v54, vcc_lo, 0, v54, vcc_lo
	v_cmp_gt_i32_e32 vcc_lo, 31, v38
	v_lshrrev_b32_e32 v23, 16, v23
	v_lshrrev_b32_e32 v27, 16, v27
	;; [unrolled: 1-line block ×4, first 2 shown]
	v_cndmask_b32_e32 v32, 0x7c00, v32, vcc_lo
	v_cmp_gt_i32_e32 vcc_lo, 31, v45
	v_cndmask_b32_e32 v58, 0x7c00, v58, vcc_lo
	v_cmp_gt_i32_e32 vcc_lo, 31, v47
	;; [unrolled: 2-line block ×7, first 2 shown]
	v_cndmask_b32_e32 v54, 0x7c00, v54, vcc_lo
	v_cmp_eq_u32_e32 vcc_lo, 0x40f, v38
	v_cndmask_b32_e32 v2, v32, v2, vcc_lo
	v_cmp_eq_u32_e32 vcc_lo, 0x40f, v45
	v_and_or_b32 v2, 0x8000, v39, v2
	v_cndmask_b32_e32 v11, v58, v11, vcc_lo
	v_cmp_eq_u32_e32 vcc_lo, 0x40f, v47
	v_and_b32_e32 v2, 0xffff, v2
	v_and_or_b32 v11, 0x8000, v12, v11
	v_cndmask_b32_e32 v18, v46, v18, vcc_lo
	v_cmp_eq_u32_e32 vcc_lo, 0x40f, v49
	v_lshl_or_b32 v2, v11, 16, v2
	v_and_or_b32 v12, 0x8000, v19, v18
	v_cndmask_b32_e32 v20, v60, v20, vcc_lo
	v_cmp_eq_u32_e32 vcc_lo, 0x40f, v51
	v_and_b32_e32 v12, 0xffff, v12
	v_and_or_b32 v18, 0x8000, v21, v20
	v_cndmask_b32_e32 v22, v50, v22, vcc_lo
	v_cmp_eq_u32_e32 vcc_lo, 0x40f, v53
	v_lshl_or_b32 v11, v18, 16, v12
	global_store_dword v[14:15], v2, off
	global_store_dword v[16:17], v11, off
	v_cndmask_b32_e32 v24, v44, v24, vcc_lo
	v_cmp_eq_u32_e32 vcc_lo, 0x40f, v55
	v_mul_f64 v[11:12], v[42:43], s[20:21]
	v_lshrrev_b32_e32 v16, 2, v56
	v_or_b32_e32 v2, 0x1000, v36
	v_med3_i32 v14, v74, 0, 13
	v_cndmask_b32_e32 v26, v48, v26, vcc_lo
	v_cmp_eq_u32_e32 vcc_lo, 0x40f, v57
	v_lshl_or_b32 v17, v30, 9, 0x7c00
	v_and_or_b32 v19, 0x8000, v23, v22
	v_and_or_b32 v20, 0x8000, v25, v24
	v_and_or_b32 v21, 0x8000, v27, v26
	v_cndmask_b32_e32 v28, v54, v28, vcc_lo
	s_or_b32 vcc_lo, s16, s15
	v_and_b32_e32 v19, 0xffff, v19
	v_add_co_ci_u32_e32 v18, vcc_lo, 0, v52, vcc_lo
	v_cmp_gt_i32_e32 vcc_lo, 31, v59
	v_and_or_b32 v22, 0x8000, v29, v28
	v_and_b32_e32 v21, 0xffff, v21
	v_lshl_or_b32 v19, v20, 16, v19
	v_add_nc_u32_e32 v23, 0xfffffc10, v63
	v_cndmask_b32_e32 v15, 0x7c00, v18, vcc_lo
	s_or_b32 vcc_lo, s18, s17
	v_lshrrev_b32_e32 v18, v14, v2
	v_add_co_ci_u32_e32 v16, vcc_lo, 0, v16, vcc_lo
	v_cmp_eq_u32_e32 vcc_lo, 0x40f, v59
	v_lshl_or_b32 v20, v22, 16, v21
	v_lshlrev_b32_e32 v14, v14, v18
	v_lshrrev_b32_e32 v22, 16, v3
	v_and_or_b32 v11, 0x1ff, v12, v11
	v_cndmask_b32_e32 v17, v15, v17, vcc_lo
	v_cmp_gt_i32_e32 vcc_lo, 31, v61
	v_bfe_u32 v25, v12, 20, 11
	v_lshrrev_b32_e32 v21, 16, v31
	s_clause 0x1
	global_load_dword v26, v[0:1], off offset:352
	global_load_dword v29, v[0:1], off offset:592
	v_cndmask_b32_e32 v16, 0x7c00, v16, vcc_lo
	v_cmp_ne_u32_e32 vcc_lo, 0, v34
	v_and_or_b32 v17, 0x8000, v21, v17
	global_store_dword v[40:41], v19, off
	global_store_dword v[4:5], v20, off
	v_cndmask_b32_e64 v15, 0, 1, vcc_lo
	v_cmp_ne_u32_e32 vcc_lo, v14, v2
	s_waitcnt vmcnt(5)
	v_mul_f16_sdwa v14, v22, v13 dst_sel:DWORD dst_unused:UNUSED_PAD src0_sel:DWORD src1_sel:WORD_1
	v_and_b32_e32 v17, 0xffff, v17
	v_lshl_or_b32 v24, v15, 9, 0x7c00
	v_cndmask_b32_e64 v2, 0, 1, vcc_lo
	v_cmp_ne_u32_e32 vcc_lo, 0, v11
	v_fmac_f16_e32 v14, v3, v13
	v_lshl_or_b32 v15, v23, 12, v36
	v_mul_f16_sdwa v3, v3, v13 dst_sel:DWORD dst_unused:UNUSED_PAD src0_sel:DWORD src1_sel:WORD_1
	v_or_b32_e32 v2, v18, v2
	v_cndmask_b32_e64 v11, 0, 1, vcc_lo
	v_lshrrev_b32_e32 v18, 8, v12
	v_cmp_gt_i32_e32 vcc_lo, 1, v23
	v_cvt_f32_f16_e32 v14, v14
	v_fma_f16 v3, v13, v22, -v3
	v_lshrrev_b32_e32 v12, 16, v12
	v_and_or_b32 v11, 0xffe, v18, v11
	v_cndmask_b32_e32 v2, v15, v2, vcc_lo
	v_sub_nc_u32_e32 v18, 0x3f1, v25
	v_cmp_eq_u32_e32 vcc_lo, 0x40f, v61
	v_cvt_f64_f32_e32 v[14:15], v14
	v_or_b32_e32 v28, 0x1000, v11
	v_and_b32_e32 v27, 7, v2
	v_med3_i32 v18, v18, 0, 13
	v_cndmask_b32_e32 v16, v16, v24, vcc_lo
	v_lshrrev_b32_e32 v24, 16, v35
	v_lshrrev_b32_e32 v2, 2, v2
	v_cmp_lt_i32_e32 vcc_lo, 5, v27
	v_cmp_eq_u32_e64 s0, 3, v27
	v_cvt_f32_f16_e32 v22, v3
	v_and_or_b32 v21, 0x8000, v24, v16
	v_lshrrev_b32_e32 v16, v18, v28
	v_add_nc_u32_e32 v25, 0xfffffc10, v25
	s_or_b32 vcc_lo, s0, vcc_lo
	v_lshl_or_b32 v21, v21, 16, v17
	v_lshlrev_b32_e32 v13, v18, v16
	v_add_co_ci_u32_e32 v18, vcc_lo, 0, v2, vcc_lo
	v_cmp_ne_u32_e32 vcc_lo, v13, v28
	v_mul_f64 v[2:3], v[14:15], s[20:21]
	v_cvt_f64_f32_e32 v[13:14], v22
	v_lshl_or_b32 v22, v25, 12, v11
	v_cndmask_b32_e64 v24, 0, 1, vcc_lo
	v_cmp_ne_u32_e32 vcc_lo, 0, v36
	v_or_b32_e32 v16, v16, v24
	v_cndmask_b32_e64 v15, 0, 1, vcc_lo
	v_cmp_gt_i32_e32 vcc_lo, 31, v23
	v_add_nc_u32_e32 v24, 0x600, v33
	v_lshl_or_b32 v15, v15, 9, 0x7c00
	v_cndmask_b32_e32 v18, 0x7c00, v18, vcc_lo
	v_cmp_gt_i32_e32 vcc_lo, 1, v25
	v_cndmask_b32_e32 v22, v22, v16, vcc_lo
	v_cmp_eq_u32_e32 vcc_lo, 0x40f, v23
	v_and_or_b32 v2, 0x1ff, v3, v2
	v_mul_f64 v[13:14], v[13:14], s[20:21]
	v_lshrrev_b32_e32 v23, 16, v37
	v_and_b32_e32 v19, 7, v22
	v_cndmask_b32_e32 v18, v18, v15, vcc_lo
	ds_read2_b32 v[15:16], v24 offset0:36 offset1:156
	v_cmp_ne_u32_e64 s1, 0, v2
	v_lshrrev_b32_e32 v17, 2, v22
	v_cmp_lt_i32_e32 vcc_lo, 5, v19
	v_cmp_eq_u32_e64 s0, 3, v19
	v_and_or_b32 v20, 0x8000, v23, v18
	v_cndmask_b32_e64 v2, 0, 1, s1
	v_lshrrev_b32_e32 v18, 8, v3
	v_bfe_u32 v19, v3, 20, 11
	s_or_b32 vcc_lo, s0, vcc_lo
	v_add_co_ci_u32_e32 v17, vcc_lo, 0, v17, vcc_lo
	v_and_or_b32 v2, 0xffe, v18, v2
	v_sub_nc_u32_e32 v18, 0x3f1, v19
	v_cmp_ne_u32_e32 vcc_lo, 0, v11
	v_or_b32_e32 v23, 0x1000, v2
	v_med3_i32 v18, v18, 0, 13
	s_waitcnt lgkmcnt(0)
	v_lshrrev_b32_e32 v22, 16, v15
	v_cndmask_b32_e64 v11, 0, 1, vcc_lo
	v_cmp_gt_i32_e32 vcc_lo, 31, v25
	v_and_or_b32 v13, 0x1ff, v14, v13
	v_lshrrev_b32_e32 v27, v18, v23
	s_waitcnt vmcnt(4)
	v_mul_f16_sdwa v24, v22, v10 dst_sel:DWORD dst_unused:UNUSED_PAD src0_sel:DWORD src1_sel:WORD_1
	v_lshl_or_b32 v11, v11, 9, 0x7c00
	v_cndmask_b32_e32 v17, 0x7c00, v17, vcc_lo
	v_cmp_eq_u32_e32 vcc_lo, 0x40f, v25
	v_lshlrev_b32_e32 v25, v18, v27
	v_fmac_f16_e32 v24, v15, v10
	v_bfe_u32 v28, v14, 20, 11
	v_mul_f16_sdwa v15, v15, v10 dst_sel:DWORD dst_unused:UNUSED_PAD src0_sel:DWORD src1_sel:WORD_1
	v_cndmask_b32_e32 v11, v17, v11, vcc_lo
	v_cmp_ne_u32_e32 vcc_lo, 0, v13
	v_cvt_f32_f16_e32 v17, v24
	v_lshrrev_b32_e32 v24, 8, v14
	v_fma_f16 v10, v10, v22, -v15
	v_and_or_b32 v11, 0x8000, v12, v11
	v_cndmask_b32_e64 v13, 0, 1, vcc_lo
	v_cmp_ne_u32_e32 vcc_lo, v25, v23
	v_cvt_f64_f32_e32 v[17:18], v17
	v_add_nc_u32_e32 v25, 0xfffffc10, v19
	v_sub_nc_u32_e32 v19, 0x3f1, v28
	v_and_or_b32 v13, 0xffe, v24, v13
	v_cndmask_b32_e64 v23, 0, 1, vcc_lo
	v_and_b32_e32 v12, 0xffff, v20
	v_lshl_or_b32 v24, v25, 12, v2
	v_med3_i32 v19, v19, 0, 13
	v_cmp_gt_i32_e32 vcc_lo, 1, v25
	v_or_b32_e32 v23, v27, v23
	v_or_b32_e32 v27, 0x1000, v13
	v_cvt_f32_f16_e32 v10, v10
	v_add_nc_u32_e32 v22, 0xfffffc10, v28
	v_lshrrev_b32_e32 v14, 16, v14
	v_cndmask_b32_e32 v20, v24, v23, vcc_lo
	v_lshrrev_b32_e32 v23, v19, v27
	v_add_co_u32 v4, vcc_lo, v4, s19
	v_add_co_ci_u32_e32 v5, vcc_lo, s22, v5, vcc_lo
	v_lshlrev_b32_e32 v19, v19, v23
	v_and_b32_e32 v30, 7, v20
	v_lshl_or_b32 v24, v11, 16, v12
	v_mul_f64 v[11:12], v[17:18], s[20:21]
	v_add_co_u32 v17, vcc_lo, v4, s19
	v_cmp_ne_u32_e64 s0, v19, v27
	v_add_co_ci_u32_e32 v18, vcc_lo, s22, v5, vcc_lo
	v_cmp_lt_i32_e32 vcc_lo, 5, v30
	v_lshrrev_b32_e32 v27, 2, v20
	v_cndmask_b32_e64 v15, 0, 1, s0
	v_cmp_eq_u32_e64 s0, 3, v30
	v_cvt_f64_f32_e32 v[19:20], v10
	global_store_dword v[4:5], v21, off
	global_store_dword v[17:18], v24, off
	v_or_b32_e32 v15, v23, v15
	s_or_b32 vcc_lo, s0, vcc_lo
	v_lshl_or_b32 v23, v22, 12, v13
	v_add_co_ci_u32_e32 v10, vcc_lo, 0, v27, vcc_lo
	v_cmp_ne_u32_e32 vcc_lo, 0, v2
	v_and_or_b32 v11, 0x1ff, v12, v11
	v_cndmask_b32_e64 v2, 0, 1, vcc_lo
	v_cmp_gt_i32_e32 vcc_lo, 1, v22
	v_lshrrev_b32_e32 v27, 8, v12
	v_bfe_u32 v28, v12, 20, 11
	v_lshrrev_b32_e32 v12, 16, v12
	v_lshl_or_b32 v2, v2, 9, 0x7c00
	v_cndmask_b32_e32 v15, v23, v15, vcc_lo
	v_cmp_gt_i32_e32 vcc_lo, 31, v25
	v_and_b32_e32 v23, 7, v15
	v_cndmask_b32_e32 v10, 0x7c00, v10, vcc_lo
	v_cmp_ne_u32_e32 vcc_lo, 0, v11
	v_lshrrev_b32_e32 v15, 2, v15
	v_cmp_eq_u32_e64 s0, 3, v23
	v_cndmask_b32_e64 v11, 0, 1, vcc_lo
	v_cmp_eq_u32_e32 vcc_lo, 0x40f, v25
	v_lshrrev_b32_e32 v25, 16, v3
	v_and_or_b32 v27, 0xffe, v27, v11
	v_cndmask_b32_e32 v10, v10, v2, vcc_lo
	v_cmp_lt_i32_e32 vcc_lo, 5, v23
	v_mul_f64 v[2:3], v[19:20], s[20:21]
	v_sub_nc_u32_e32 v11, 0x3f1, v28
	v_or_b32_e32 v20, 0x1000, v27
	v_lshrrev_b32_e32 v19, 16, v7
	s_or_b32 vcc_lo, s0, vcc_lo
	v_and_or_b32 v25, 0x8000, v25, v10
	v_add_co_ci_u32_e32 v15, vcc_lo, 0, v15, vcc_lo
	v_med3_i32 v11, v11, 0, 13
	v_cmp_ne_u32_e32 vcc_lo, 0, v13
	s_waitcnt vmcnt(3)
	v_mul_f16_sdwa v23, v19, v9 dst_sel:DWORD dst_unused:UNUSED_PAD src0_sel:DWORD src1_sel:WORD_1
	v_and_b32_e32 v25, 0xffff, v25
	v_lshrrev_b32_e32 v30, v11, v20
	v_cndmask_b32_e64 v13, 0, 1, vcc_lo
	v_cmp_gt_i32_e32 vcc_lo, 31, v22
	v_fmac_f16_e32 v23, v7, v9
	v_mul_f16_sdwa v7, v7, v9 dst_sel:DWORD dst_unused:UNUSED_PAD src0_sel:DWORD src1_sel:WORD_1
	v_lshlrev_b32_e32 v31, v11, v30
	v_lshl_or_b32 v13, v13, 9, 0x7c00
	v_cndmask_b32_e32 v15, 0x7c00, v15, vcc_lo
	v_cmp_eq_u32_e32 vcc_lo, 0x40f, v22
	v_and_or_b32 v2, 0x1ff, v3, v2
	v_cvt_f32_f16_e32 v10, v23
	v_lshrrev_b32_e32 v22, 8, v3
	v_bfe_u32 v23, v3, 20, 11
	v_cndmask_b32_e32 v13, v15, v13, vcc_lo
	v_cmp_ne_u32_e32 vcc_lo, v31, v20
	v_cvt_f64_f32_e32 v[10:11], v10
	v_add_nc_u32_e32 v20, 0xfffffc10, v28
	v_fma_f16 v7, v9, v19, -v7
	v_and_or_b32 v13, 0x8000, v14, v13
	v_cndmask_b32_e64 v15, 0, 1, vcc_lo
	v_cmp_ne_u32_e32 vcc_lo, 0, v2
	v_add_nc_u32_e32 v9, 0xfffffc10, v23
	v_cvt_f32_f16_e32 v7, v7
	v_lshl_or_b32 v21, v13, 16, v25
	v_or_b32_e32 v14, v30, v15
	v_cndmask_b32_e64 v2, 0, 1, vcc_lo
	v_lshl_or_b32 v15, v20, 12, v27
	v_cmp_gt_i32_e32 vcc_lo, 1, v20
	v_and_or_b32 v2, 0xffe, v22, v2
	v_sub_nc_u32_e32 v22, 0x3f1, v23
	v_cndmask_b32_e32 v14, v15, v14, vcc_lo
	v_or_b32_e32 v15, 0x1000, v2
	v_med3_i32 v22, v22, 0, 13
	v_and_b32_e32 v13, 7, v14
	v_mul_f64 v[4:5], v[10:11], s[20:21]
	v_add_co_u32 v10, vcc_lo, v17, s19
	v_lshrrev_b32_e32 v24, v22, v15
	v_add_co_ci_u32_e32 v11, vcc_lo, s22, v18, vcc_lo
	v_cmp_lt_i32_e32 vcc_lo, 5, v13
	v_cmp_eq_u32_e64 s0, 3, v13
	v_lshlrev_b32_e32 v17, v22, v24
	v_lshrrev_b32_e32 v13, 2, v14
	v_lshl_or_b32 v18, v9, 12, v2
	global_store_dword v[10:11], v21, off
	s_or_b32 vcc_lo, s0, vcc_lo
	v_cmp_ne_u32_e64 s1, v17, v15
	v_add_co_ci_u32_e32 v15, vcc_lo, 0, v13, vcc_lo
	v_cmp_ne_u32_e32 vcc_lo, 0, v27
	v_cndmask_b32_e64 v14, 0, 1, s1
	v_cndmask_b32_e64 v19, 0, 1, vcc_lo
	v_cmp_gt_i32_e32 vcc_lo, 1, v9
	v_or_b32_e32 v17, v24, v14
	v_cvt_f64_f32_e32 v[13:14], v7
	v_and_or_b32 v4, 0x1ff, v5, v4
	v_bfe_u32 v22, v5, 20, 11
	v_cndmask_b32_e32 v7, v18, v17, vcc_lo
	v_cmp_gt_i32_e32 vcc_lo, 31, v20
	v_lshl_or_b32 v17, v19, 9, 0x7c00
	v_lshrrev_b32_e32 v19, 8, v5
	v_lshrrev_b32_e32 v5, 16, v5
	v_and_b32_e32 v18, 7, v7
	v_cndmask_b32_e32 v15, 0x7c00, v15, vcc_lo
	v_cmp_ne_u32_e32 vcc_lo, 0, v4
	v_lshrrev_b32_e32 v7, 2, v7
	v_cmp_eq_u32_e64 s0, 3, v18
	v_cndmask_b32_e64 v4, 0, 1, vcc_lo
	v_cmp_eq_u32_e32 vcc_lo, 0x40f, v20
	v_and_or_b32 v4, 0xffe, v19, v4
	v_cndmask_b32_e32 v15, v15, v17, vcc_lo
	v_cmp_lt_i32_e32 vcc_lo, 5, v18
	v_lshrrev_b32_e32 v18, 16, v16
	v_mul_f64 v[13:14], v[13:14], s[20:21]
	v_sub_nc_u32_e32 v17, 0x3f1, v22
	v_or_b32_e32 v19, 0x1000, v4
	s_or_b32 vcc_lo, s0, vcc_lo
	s_waitcnt vmcnt(2)
	v_mul_f16_sdwa v20, v18, v8 dst_sel:DWORD dst_unused:UNUSED_PAD src0_sel:DWORD src1_sel:WORD_1
	v_add_co_ci_u32_e32 v7, vcc_lo, 0, v7, vcc_lo
	v_cmp_ne_u32_e32 vcc_lo, 0, v2
	v_med3_i32 v17, v17, 0, 13
	v_fmac_f16_e32 v20, v16, v8
	v_and_or_b32 v12, 0x8000, v12, v15
	v_mul_f16_sdwa v16, v16, v8 dst_sel:DWORD dst_unused:UNUSED_PAD src0_sel:DWORD src1_sel:WORD_1
	v_cndmask_b32_e64 v2, 0, 1, vcc_lo
	v_cmp_gt_i32_e32 vcc_lo, 31, v9
	v_lshrrev_b32_e32 v23, v17, v19
	v_cvt_f32_f16_e32 v20, v20
	v_and_b32_e32 v12, 0xffff, v12
	v_lshl_or_b32 v2, v2, 9, 0x7c00
	v_cndmask_b32_e32 v7, 0x7c00, v7, vcc_lo
	v_cmp_eq_u32_e32 vcc_lo, 0x40f, v9
	v_lshlrev_b32_e32 v17, v17, v23
	v_lshrrev_b32_e32 v9, 16, v3
	v_and_or_b32 v13, 0x1ff, v14, v13
	v_fma_f16 v8, v8, v18, -v16
	v_cndmask_b32_e32 v7, v7, v2, vcc_lo
	v_cvt_f64_f32_e32 v[2:3], v20
	v_cmp_ne_u32_e32 vcc_lo, v17, v19
	v_add_nc_u32_e32 v19, 0xfffffc10, v22
	v_bfe_u32 v20, v14, 20, 11
	v_and_or_b32 v7, 0x8000, v9, v7
	v_cvt_f32_f16_e32 v16, v8
	v_cndmask_b32_e64 v17, 0, 1, vcc_lo
	v_cmp_ne_u32_e32 vcc_lo, 0, v13
	v_lshl_or_b32 v15, v19, 12, v4
	v_or_b32_e32 v9, v23, v17
	v_cndmask_b32_e64 v13, 0, 1, vcc_lo
	v_lshrrev_b32_e32 v17, 8, v14
	v_cmp_gt_i32_e32 vcc_lo, 1, v19
	v_lshrrev_b32_e32 v14, 16, v14
	v_and_or_b32 v13, 0xffe, v17, v13
	v_cndmask_b32_e32 v15, v15, v9, vcc_lo
	v_sub_nc_u32_e32 v9, 0x3f1, v20
	v_lshl_or_b32 v17, v7, 16, v12
	v_mul_f64 v[2:3], v[2:3], s[20:21]
	v_or_b32_e32 v12, 0x1000, v13
	v_and_b32_e32 v7, 7, v15
	v_med3_i32 v21, v9, 0, 13
	v_add_co_u32 v9, vcc_lo, v10, s19
	v_add_co_ci_u32_e32 v10, vcc_lo, s22, v11, vcc_lo
	v_lshrrev_b32_e32 v22, v21, v12
	v_cmp_lt_i32_e32 vcc_lo, 5, v7
	v_cmp_eq_u32_e64 s0, 3, v7
	v_lshrrev_b32_e32 v7, 2, v15
	v_add_nc_u32_e32 v15, 0x800, v33
	v_lshlrev_b32_e32 v11, v21, v22
	s_or_b32 vcc_lo, s0, vcc_lo
	v_add_co_ci_u32_e32 v18, vcc_lo, 0, v7, vcc_lo
	v_cmp_ne_u32_e32 vcc_lo, v11, v12
	ds_read2_b32 v[7:8], v15 offset0:88 offset1:148
	v_cvt_f64_f32_e32 v[11:12], v16
	v_and_or_b32 v2, 0x1ff, v3, v2
	v_add_nc_u32_e32 v16, 0xfffffc10, v20
	v_cndmask_b32_e64 v15, 0, 1, vcc_lo
	v_cmp_gt_i32_e32 vcc_lo, 31, v19
	v_lshrrev_b32_e32 v21, 8, v3
	v_lshl_or_b32 v20, v16, 12, v13
	v_or_b32_e32 v15, v22, v15
	v_cndmask_b32_e32 v18, 0x7c00, v18, vcc_lo
	v_cmp_ne_u32_e32 vcc_lo, 0, v2
	v_bfe_u32 v22, v3, 20, 11
	v_cndmask_b32_e64 v2, 0, 1, vcc_lo
	v_cmp_ne_u32_e32 vcc_lo, 0, v4
	v_and_or_b32 v2, 0xffe, v21, v2
	v_cndmask_b32_e64 v4, 0, 1, vcc_lo
	v_cmp_gt_i32_e32 vcc_lo, 1, v16
	s_waitcnt lgkmcnt(0)
	v_lshrrev_b32_e32 v21, 16, v7
	v_mul_f64 v[11:12], v[11:12], s[20:21]
	v_or_b32_e32 v24, 0x1000, v2
	v_lshl_or_b32 v4, v4, 9, 0x7c00
	v_cndmask_b32_e32 v15, v20, v15, vcc_lo
	v_sub_nc_u32_e32 v20, 0x3f1, v22
	v_cmp_eq_u32_e32 vcc_lo, 0x40f, v19
	s_waitcnt vmcnt(1)
	v_mul_f16_sdwa v25, v21, v26 dst_sel:DWORD dst_unused:UNUSED_PAD src0_sel:DWORD src1_sel:WORD_1
	v_add_nc_u32_e32 v22, 0xfffffc10, v22
	v_and_b32_e32 v23, 7, v15
	v_med3_i32 v20, v20, 0, 13
	v_cndmask_b32_e32 v4, v18, v4, vcc_lo
	v_fmac_f16_e32 v25, v7, v26
	v_mul_f16_sdwa v7, v7, v26 dst_sel:DWORD dst_unused:UNUSED_PAD src0_sel:DWORD src1_sel:WORD_1
	v_cmp_lt_i32_e32 vcc_lo, 5, v23
	v_lshrrev_b32_e32 v18, v20, v24
	v_cmp_eq_u32_e64 s0, 3, v23
	v_and_or_b32 v19, 0x8000, v5, v4
	v_lshrrev_b32_e32 v4, 2, v15
	v_cvt_f32_f16_e32 v15, v25
	v_lshlrev_b32_e32 v5, v20, v18
	s_or_b32 vcc_lo, s0, vcc_lo
	v_fma_f16 v7, v26, v21, -v7
	v_add_co_ci_u32_e32 v20, vcc_lo, 0, v4, vcc_lo
	v_cmp_ne_u32_e32 vcc_lo, v5, v24
	v_cvt_f64_f32_e32 v[4:5], v15
	v_and_or_b32 v11, 0x1ff, v12, v11
	v_cvt_f32_f16_e32 v7, v7
	v_cndmask_b32_e64 v23, 0, 1, vcc_lo
	v_cmp_ne_u32_e32 vcc_lo, 0, v13
	v_or_b32_e32 v15, v18, v23
	v_cndmask_b32_e64 v13, 0, 1, vcc_lo
	v_cmp_gt_i32_e32 vcc_lo, 31, v16
	v_lshl_or_b32 v18, v22, 12, v2
	v_bfe_u32 v23, v12, 20, 11
	v_lshl_or_b32 v13, v13, 9, 0x7c00
	v_cndmask_b32_e32 v20, 0x7c00, v20, vcc_lo
	v_cmp_gt_i32_e32 vcc_lo, 1, v22
	v_cndmask_b32_e32 v15, v18, v15, vcc_lo
	v_cmp_ne_u32_e32 vcc_lo, 0, v11
	v_lshrrev_b32_e32 v18, 8, v12
	v_mul_f64 v[4:5], v[4:5], s[20:21]
	v_and_b32_e32 v24, 7, v15
	v_cndmask_b32_e64 v11, 0, 1, vcc_lo
	v_cmp_eq_u32_e32 vcc_lo, 0x40f, v16
	v_sub_nc_u32_e32 v16, 0x3f1, v23
	v_cmp_eq_u32_e64 s0, 3, v24
	v_and_or_b32 v11, 0xffe, v18, v11
	v_cndmask_b32_e32 v13, v20, v13, vcc_lo
	v_cmp_lt_i32_e32 vcc_lo, 5, v24
	v_med3_i32 v16, v16, 0, 13
	v_or_b32_e32 v18, 0x1000, v11
	v_and_or_b32 v13, 0x8000, v14, v13
	v_lshrrev_b32_e32 v14, 2, v15
	s_or_b32 vcc_lo, s0, vcc_lo
	v_and_b32_e32 v15, 0xffff, v19
	v_lshrrev_b32_e32 v19, v16, v18
	v_add_co_ci_u32_e32 v14, vcc_lo, 0, v14, vcc_lo
	v_cmp_ne_u32_e32 vcc_lo, 0, v2
	v_lshl_or_b32 v20, v13, 16, v15
	v_lshlrev_b32_e32 v13, v16, v19
	v_and_or_b32 v4, 0x1ff, v5, v4
	v_bfe_u32 v21, v5, 20, 11
	v_cndmask_b32_e64 v2, 0, 1, vcc_lo
	v_cmp_gt_i32_e32 vcc_lo, 31, v22
	v_lshl_or_b32 v2, v2, 9, 0x7c00
	v_cndmask_b32_e32 v14, 0x7c00, v14, vcc_lo
	v_cmp_ne_u32_e32 vcc_lo, v13, v18
	v_add_nc_u32_e32 v18, 0xfffffc10, v23
	v_cndmask_b32_e64 v13, 0, 1, vcc_lo
	v_cmp_eq_u32_e32 vcc_lo, 0x40f, v22
	v_lshl_or_b32 v16, v18, 12, v11
	v_cndmask_b32_e32 v15, v14, v2, vcc_lo
	v_cmp_ne_u32_e32 vcc_lo, 0, v4
	v_or_b32_e32 v2, v19, v13
	v_lshrrev_b32_e32 v19, 8, v5
	v_cvt_f64_f32_e32 v[13:14], v7
	v_lshrrev_b32_e32 v5, 16, v5
	v_cndmask_b32_e64 v4, 0, 1, vcc_lo
	v_cmp_gt_i32_e32 vcc_lo, 1, v18
	v_and_or_b32 v4, 0xffe, v19, v4
	v_cndmask_b32_e32 v7, v16, v2, vcc_lo
	v_sub_nc_u32_e32 v2, 0x3f1, v21
	v_lshrrev_b32_e32 v19, 16, v8
	v_lshrrev_b32_e32 v16, 16, v3
	v_or_b32_e32 v23, 0x1000, v4
	v_and_b32_e32 v22, 7, v7
	v_med3_i32 v24, v2, 0, 13
	s_waitcnt vmcnt(0)
	v_mul_f16_sdwa v25, v19, v29 dst_sel:DWORD dst_unused:UNUSED_PAD src0_sel:DWORD src1_sel:WORD_1
	v_add_co_u32 v2, vcc_lo, v9, s19
	v_add_co_ci_u32_e32 v3, vcc_lo, s22, v10, vcc_lo
	v_lshrrev_b32_e32 v27, v24, v23
	v_cmp_lt_i32_e32 vcc_lo, 5, v22
	v_cmp_eq_u32_e64 s0, 3, v22
	v_fmac_f16_e32 v25, v8, v29
	v_lshrrev_b32_e32 v7, 2, v7
	v_lshlrev_b32_e32 v22, v24, v27
	v_and_or_b32 v26, 0x8000, v16, v15
	s_or_b32 vcc_lo, s0, vcc_lo
	v_cvt_f32_f16_e32 v15, v25
	v_add_co_ci_u32_e32 v7, vcc_lo, 0, v7, vcc_lo
	v_mul_f64 v[13:14], v[13:14], s[20:21]
	v_cmp_ne_u32_e32 vcc_lo, v22, v23
	v_cvt_f64_f32_e32 v[15:16], v15
	v_add_nc_u32_e32 v21, 0xfffffc10, v21
	v_mul_f16_sdwa v8, v8, v29 dst_sel:DWORD dst_unused:UNUSED_PAD src0_sel:DWORD src1_sel:WORD_1
	v_cndmask_b32_e64 v22, 0, 1, vcc_lo
	v_cmp_ne_u32_e32 vcc_lo, 0, v11
	v_lshl_or_b32 v23, v21, 12, v4
	v_fma_f16 v8, v29, v19, -v8
	v_or_b32_e32 v22, v27, v22
	v_cndmask_b32_e64 v11, 0, 1, vcc_lo
	v_cmp_gt_i32_e32 vcc_lo, 31, v18
	v_cvt_f32_f16_e32 v8, v8
	v_lshl_or_b32 v11, v11, 9, 0x7c00
	v_cndmask_b32_e32 v7, 0x7c00, v7, vcc_lo
	v_cmp_gt_i32_e32 vcc_lo, 1, v21
	v_and_or_b32 v13, 0x1ff, v14, v13
	v_cndmask_b32_e32 v19, v23, v22, vcc_lo
	v_cmp_eq_u32_e32 vcc_lo, 0x40f, v18
	v_lshrrev_b32_e32 v22, 16, v12
	v_and_b32_e32 v23, 7, v19
	v_cndmask_b32_e32 v18, v7, v11, vcc_lo
	v_mul_f64 v[11:12], v[15:16], s[20:21]
	v_cvt_f64_f32_e32 v[7:8], v8
	v_cmp_ne_u32_e32 vcc_lo, 0, v13
	v_lshrrev_b32_e32 v15, 8, v14
	v_bfe_u32 v16, v14, 20, 11
	v_cmp_eq_u32_e64 s0, 3, v23
	v_lshrrev_b32_e32 v19, 2, v19
	v_cndmask_b32_e64 v13, 0, 1, vcc_lo
	v_cmp_lt_i32_e32 vcc_lo, 5, v23
	v_and_or_b32 v18, 0x8000, v22, v18
	v_and_b32_e32 v22, 0xffff, v26
	v_lshrrev_b32_e32 v14, 16, v14
	v_and_or_b32 v13, 0xffe, v15, v13
	v_sub_nc_u32_e32 v15, 0x3f1, v16
	s_or_b32 vcc_lo, s0, vcc_lo
	v_lshl_or_b32 v18, v18, 16, v22
	v_add_co_ci_u32_e32 v19, vcc_lo, 0, v19, vcc_lo
	v_or_b32_e32 v22, 0x1000, v13
	v_med3_i32 v15, v15, 0, 13
	v_cmp_ne_u32_e32 vcc_lo, 0, v4
	v_add_nc_u32_e32 v16, 0xfffffc10, v16
	v_and_or_b32 v11, 0x1ff, v12, v11
	v_mul_f64 v[7:8], v[7:8], s[20:21]
	v_lshrrev_b32_e32 v23, v15, v22
	v_cndmask_b32_e64 v4, 0, 1, vcc_lo
	v_cmp_gt_i32_e32 vcc_lo, 31, v21
	v_lshrrev_b32_e32 v24, 8, v12
	v_bfe_u32 v25, v12, 20, 11
	v_lshlrev_b32_e32 v15, v15, v23
	v_lshl_or_b32 v4, v4, 9, 0x7c00
	v_cndmask_b32_e32 v19, 0x7c00, v19, vcc_lo
	v_cmp_ne_u32_e32 vcc_lo, 0, v11
	v_lshrrev_b32_e32 v12, 16, v12
	v_cndmask_b32_e64 v11, 0, 1, vcc_lo
	v_cmp_ne_u32_e32 vcc_lo, v15, v22
	v_sub_nc_u32_e32 v22, 0x3f1, v25
	v_and_or_b32 v11, 0xffe, v24, v11
	v_cndmask_b32_e64 v15, 0, 1, vcc_lo
	v_cmp_eq_u32_e32 vcc_lo, 0x40f, v21
	v_med3_i32 v22, v22, 0, 13
	v_and_or_b32 v7, 0x1ff, v8, v7
	v_or_b32_e32 v21, 0x1000, v11
	v_or_b32_e32 v15, v23, v15
	v_cndmask_b32_e32 v4, v19, v4, vcc_lo
	v_lshl_or_b32 v19, v16, 12, v13
	v_cmp_gt_i32_e32 vcc_lo, 1, v16
	v_lshrrev_b32_e32 v23, 8, v8
	v_bfe_u32 v24, v8, 20, 11
	v_and_or_b32 v4, 0x8000, v5, v4
	v_lshrrev_b32_e32 v8, 16, v8
	v_cndmask_b32_e32 v15, v19, v15, vcc_lo
	v_lshrrev_b32_e32 v19, v22, v21
	v_cmp_ne_u32_e32 vcc_lo, 0, v7
	v_and_b32_e32 v26, 7, v15
	v_lshlrev_b32_e32 v22, v22, v19
	v_cndmask_b32_e64 v7, 0, 1, vcc_lo
	v_lshrrev_b32_e32 v15, 2, v15
	v_cmp_lt_i32_e32 vcc_lo, 5, v26
	v_cmp_ne_u32_e64 s0, v22, v21
	v_and_or_b32 v5, 0xffe, v23, v7
	v_sub_nc_u32_e32 v7, 0x3f1, v24
	v_add_nc_u32_e32 v23, 0xfffffc10, v25
	v_cndmask_b32_e64 v21, 0, 1, s0
	v_cmp_eq_u32_e64 s0, 3, v26
	v_or_b32_e32 v22, 0x1000, v5
	v_med3_i32 v7, v7, 0, 13
	v_lshl_or_b32 v25, v23, 12, v11
	v_or_b32_e32 v19, v19, v21
	s_or_b32 vcc_lo, s0, vcc_lo
	v_add_co_ci_u32_e32 v15, vcc_lo, 0, v15, vcc_lo
	v_lshrrev_b32_e32 v21, v7, v22
	v_cmp_gt_i32_e32 vcc_lo, 1, v23
	v_lshlrev_b32_e32 v7, v7, v21
	v_cndmask_b32_e32 v19, v25, v19, vcc_lo
	v_cmp_ne_u32_e32 vcc_lo, 0, v13
	v_cndmask_b32_e64 v13, 0, 1, vcc_lo
	v_cmp_ne_u32_e32 vcc_lo, v7, v22
	v_add_nc_u32_e32 v22, 0xfffffc10, v24
	v_and_b32_e32 v24, 7, v19
	v_lshl_or_b32 v13, v13, 9, 0x7c00
	v_cndmask_b32_e64 v7, 0, 1, vcc_lo
	v_cmp_gt_i32_e32 vcc_lo, 31, v16
	v_cmp_gt_i32_e64 s1, 1, v22
	v_cmp_eq_u32_e64 s0, 3, v24
	v_or_b32_e32 v7, v21, v7
	v_lshl_or_b32 v21, v22, 12, v5
	v_cndmask_b32_e32 v15, 0x7c00, v15, vcc_lo
	v_cmp_lt_i32_e32 vcc_lo, 5, v24
	v_cndmask_b32_e64 v7, v21, v7, s1
	v_cmp_eq_u32_e64 s1, 0x40f, v16
	s_or_b32 vcc_lo, s0, vcc_lo
	v_and_b32_e32 v16, 7, v7
	v_cndmask_b32_e64 v13, v15, v13, s1
	v_lshrrev_b32_e32 v15, 2, v19
	v_lshrrev_b32_e32 v7, 2, v7
	v_cmp_gt_i32_e64 s1, 31, v23
	v_cmp_eq_u32_e64 s0, 3, v16
	v_and_or_b32 v13, 0x8000, v14, v13
	v_add_co_ci_u32_e32 v15, vcc_lo, 0, v15, vcc_lo
	v_cmp_ne_u32_e32 vcc_lo, 0, v11
	v_and_b32_e32 v14, 0xffff, v4
	v_cndmask_b32_e64 v15, 0x7c00, v15, s1
	v_cndmask_b32_e64 v11, 0, 1, vcc_lo
	v_cmp_lt_i32_e32 vcc_lo, 5, v16
	v_lshl_or_b32 v13, v13, 16, v14
	v_lshl_or_b32 v11, v11, 9, 0x7c00
	s_or_b32 vcc_lo, s0, vcc_lo
	v_add_co_ci_u32_e32 v7, vcc_lo, 0, v7, vcc_lo
	v_cmp_ne_u32_e32 vcc_lo, 0, v5
	v_cndmask_b32_e64 v5, 0, 1, vcc_lo
	v_cmp_eq_u32_e32 vcc_lo, 0x40f, v23
	v_lshl_or_b32 v5, v5, 9, 0x7c00
	v_cndmask_b32_e32 v11, v15, v11, vcc_lo
	v_cmp_gt_i32_e32 vcc_lo, 31, v22
	v_and_or_b32 v11, 0x8000, v12, v11
	v_cndmask_b32_e32 v7, 0x7c00, v7, vcc_lo
	v_cmp_eq_u32_e32 vcc_lo, 0x40f, v22
	v_and_b32_e32 v11, 0xffff, v11
	v_cndmask_b32_e32 v7, v7, v5, vcc_lo
	v_add_co_u32 v4, vcc_lo, v2, s19
	v_add_co_ci_u32_e32 v5, vcc_lo, s22, v3, vcc_lo
	v_and_or_b32 v12, 0x8000, v8, v7
	v_add_co_u32 v7, vcc_lo, v4, s19
	v_add_co_ci_u32_e32 v8, vcc_lo, s22, v5, vcc_lo
	v_lshl_or_b32 v14, v12, 16, v11
	v_add_co_u32 v11, vcc_lo, v7, s19
	v_add_co_ci_u32_e32 v12, vcc_lo, s22, v8, vcc_lo
	global_store_dword v[9:10], v17, off
	global_store_dword v[2:3], v20, off
	;; [unrolled: 1-line block ×5, first 2 shown]
	global_load_dword v4, v[0:1], off offset:832
	ds_read2_b32 v[2:3], v6 offset0:80 offset1:140
	s_waitcnt lgkmcnt(0)
	v_lshrrev_b32_e32 v5, 16, v2
	s_waitcnt vmcnt(0)
	v_mul_f16_sdwa v6, v5, v4 dst_sel:DWORD dst_unused:UNUSED_PAD src0_sel:DWORD src1_sel:WORD_1
	v_mul_f16_sdwa v7, v2, v4 dst_sel:DWORD dst_unused:UNUSED_PAD src0_sel:DWORD src1_sel:WORD_1
	v_fmac_f16_e32 v6, v2, v4
	v_fma_f16 v2, v4, v5, -v7
	v_cvt_f32_f16_e32 v4, v6
	v_cvt_f32_f16_e32 v2, v2
	v_cvt_f64_f32_e32 v[4:5], v4
	v_cvt_f64_f32_e32 v[6:7], v2
	v_mul_f64 v[4:5], v[4:5], s[20:21]
	v_mul_f64 v[6:7], v[6:7], s[20:21]
	v_and_or_b32 v2, 0x1ff, v5, v4
	v_and_or_b32 v4, 0x1ff, v7, v6
	v_lshrrev_b32_e32 v6, 8, v5
	v_bfe_u32 v8, v5, 20, 11
	v_lshrrev_b32_e32 v9, 8, v7
	v_cmp_ne_u32_e32 vcc_lo, 0, v2
	v_bfe_u32 v10, v7, 20, 11
	v_lshrrev_b32_e32 v5, 16, v5
	v_cndmask_b32_e64 v2, 0, 1, vcc_lo
	v_cmp_ne_u32_e32 vcc_lo, 0, v4
	v_and_or_b32 v2, 0xffe, v6, v2
	v_cndmask_b32_e64 v4, 0, 1, vcc_lo
	v_sub_nc_u32_e32 v6, 0x3f1, v8
	v_add_nc_u32_e32 v8, 0xfffffc10, v8
	v_or_b32_e32 v13, 0x1000, v2
	v_and_or_b32 v4, 0xffe, v9, v4
	v_sub_nc_u32_e32 v9, 0x3f1, v10
	v_med3_i32 v6, v6, 0, 13
	v_add_nc_u32_e32 v10, 0xfffffc10, v10
	v_or_b32_e32 v14, 0x1000, v4
	v_med3_i32 v9, v9, 0, 13
	v_lshrrev_b32_e32 v15, v6, v13
	v_lshrrev_b32_e32 v16, v9, v14
	v_lshlrev_b32_e32 v6, v6, v15
	v_lshlrev_b32_e32 v9, v9, v16
	v_cmp_ne_u32_e32 vcc_lo, v6, v13
	v_lshl_or_b32 v13, v8, 12, v2
	v_cndmask_b32_e64 v6, 0, 1, vcc_lo
	v_cmp_ne_u32_e32 vcc_lo, v9, v14
	v_lshl_or_b32 v14, v10, 12, v4
	v_or_b32_e32 v6, v15, v6
	v_cndmask_b32_e64 v9, 0, 1, vcc_lo
	v_cmp_gt_i32_e32 vcc_lo, 1, v8
	v_or_b32_e32 v9, v16, v9
	v_cndmask_b32_e32 v6, v13, v6, vcc_lo
	v_cmp_gt_i32_e32 vcc_lo, 1, v10
	v_and_b32_e32 v13, 7, v6
	v_cndmask_b32_e32 v9, v14, v9, vcc_lo
	v_lshrrev_b32_e32 v6, 2, v6
	v_cmp_lt_i32_e32 vcc_lo, 5, v13
	v_cmp_eq_u32_e64 s0, 3, v13
	v_and_b32_e32 v14, 7, v9
	v_lshrrev_b32_e32 v9, 2, v9
	s_or_b32 vcc_lo, s0, vcc_lo
	v_cmp_lt_i32_e64 s1, 5, v14
	v_add_co_ci_u32_e32 v6, vcc_lo, 0, v6, vcc_lo
	v_cmp_eq_u32_e64 s2, 3, v14
	v_cmp_ne_u32_e32 vcc_lo, 0, v2
	v_cndmask_b32_e64 v2, 0, 1, vcc_lo
	s_or_b32 vcc_lo, s2, s1
	v_add_co_ci_u32_e32 v9, vcc_lo, 0, v9, vcc_lo
	v_cmp_ne_u32_e32 vcc_lo, 0, v4
	v_lshl_or_b32 v2, v2, 9, 0x7c00
	v_cndmask_b32_e64 v4, 0, 1, vcc_lo
	v_cmp_gt_i32_e32 vcc_lo, 31, v8
	v_lshl_or_b32 v4, v4, 9, 0x7c00
	v_cndmask_b32_e32 v6, 0x7c00, v6, vcc_lo
	v_cmp_gt_i32_e32 vcc_lo, 31, v10
	v_cndmask_b32_e32 v9, 0x7c00, v9, vcc_lo
	v_cmp_eq_u32_e32 vcc_lo, 0x40f, v8
	v_cndmask_b32_e32 v2, v6, v2, vcc_lo
	v_cmp_eq_u32_e32 vcc_lo, 0x40f, v10
	v_lshrrev_b32_e32 v6, 16, v7
	v_and_or_b32 v2, 0x8000, v5, v2
	v_cndmask_b32_e32 v4, v9, v4, vcc_lo
	v_and_b32_e32 v2, 0xffff, v2
	v_and_or_b32 v4, 0x8000, v6, v4
	v_lshrrev_b32_e32 v6, 16, v3
	v_lshl_or_b32 v2, v4, 16, v2
	v_add_co_u32 v4, vcc_lo, v11, s19
	v_add_co_ci_u32_e32 v5, vcc_lo, s22, v12, vcc_lo
	global_store_dword v[4:5], v2, off
	global_load_dword v2, v[0:1], off offset:1072
	s_waitcnt vmcnt(0)
	v_mul_f16_sdwa v7, v6, v2 dst_sel:DWORD dst_unused:UNUSED_PAD src0_sel:DWORD src1_sel:WORD_1
	v_mul_f16_sdwa v8, v3, v2 dst_sel:DWORD dst_unused:UNUSED_PAD src0_sel:DWORD src1_sel:WORD_1
	v_fmac_f16_e32 v7, v3, v2
	v_fma_f16 v2, v2, v6, -v8
	v_cvt_f32_f16_e32 v3, v7
	v_cvt_f32_f16_e32 v6, v2
	v_cvt_f64_f32_e32 v[2:3], v3
	v_cvt_f64_f32_e32 v[6:7], v6
	v_mul_f64 v[2:3], v[2:3], s[20:21]
	v_mul_f64 v[6:7], v[6:7], s[20:21]
	v_and_or_b32 v2, 0x1ff, v3, v2
	v_and_or_b32 v6, 0x1ff, v7, v6
	v_lshrrev_b32_e32 v8, 8, v3
	v_bfe_u32 v9, v3, 20, 11
	v_lshrrev_b32_e32 v10, 8, v7
	v_cmp_ne_u32_e32 vcc_lo, 0, v2
	v_bfe_u32 v11, v7, 20, 11
	v_lshrrev_b32_e32 v3, 16, v3
	v_sub_nc_u32_e32 v12, 0x3f1, v9
	v_add_nc_u32_e32 v9, 0xfffffc10, v9
	v_cndmask_b32_e64 v2, 0, 1, vcc_lo
	v_cmp_ne_u32_e32 vcc_lo, 0, v6
	v_lshrrev_b32_e32 v7, 16, v7
	v_and_or_b32 v2, 0xffe, v8, v2
	v_cndmask_b32_e64 v6, 0, 1, vcc_lo
	v_sub_nc_u32_e32 v8, 0x3f1, v11
	v_add_nc_u32_e32 v11, 0xfffffc10, v11
	v_and_or_b32 v6, 0xffe, v10, v6
	v_med3_i32 v10, v12, 0, 13
	v_or_b32_e32 v12, 0x1000, v2
	v_med3_i32 v8, v8, 0, 13
	v_or_b32_e32 v13, 0x1000, v6
	v_lshrrev_b32_e32 v14, v10, v12
	v_lshrrev_b32_e32 v15, v8, v13
	v_lshlrev_b32_e32 v10, v10, v14
	v_lshlrev_b32_e32 v8, v8, v15
	v_cmp_ne_u32_e32 vcc_lo, v10, v12
	v_lshl_or_b32 v12, v9, 12, v2
	v_cndmask_b32_e64 v10, 0, 1, vcc_lo
	v_cmp_ne_u32_e32 vcc_lo, v8, v13
	v_lshl_or_b32 v13, v11, 12, v6
	v_or_b32_e32 v10, v14, v10
	v_cndmask_b32_e64 v8, 0, 1, vcc_lo
	v_cmp_gt_i32_e32 vcc_lo, 1, v9
	v_or_b32_e32 v8, v15, v8
	v_cndmask_b32_e32 v10, v12, v10, vcc_lo
	v_cmp_gt_i32_e32 vcc_lo, 1, v11
	v_and_b32_e32 v12, 7, v10
	v_cndmask_b32_e32 v8, v13, v8, vcc_lo
	v_cmp_ne_u32_e32 vcc_lo, 0, v2
	v_lshrrev_b32_e32 v10, 2, v10
	v_cmp_eq_u32_e64 s0, 3, v12
	v_and_b32_e32 v13, 7, v8
	v_cndmask_b32_e64 v2, 0, 1, vcc_lo
	v_cmp_ne_u32_e32 vcc_lo, 0, v6
	v_lshrrev_b32_e32 v8, 2, v8
	v_cmp_lt_i32_e64 s1, 5, v13
	v_cmp_eq_u32_e64 s2, 3, v13
	v_cndmask_b32_e64 v6, 0, 1, vcc_lo
	v_cmp_lt_i32_e32 vcc_lo, 5, v12
	v_lshl_or_b32 v2, v2, 9, 0x7c00
	v_lshl_or_b32 v6, v6, 9, 0x7c00
	s_or_b32 vcc_lo, s0, vcc_lo
	v_add_co_ci_u32_e32 v10, vcc_lo, 0, v10, vcc_lo
	s_or_b32 vcc_lo, s2, s1
	v_add_co_ci_u32_e32 v8, vcc_lo, 0, v8, vcc_lo
	v_cmp_gt_i32_e32 vcc_lo, 31, v9
	v_cndmask_b32_e32 v10, 0x7c00, v10, vcc_lo
	v_cmp_gt_i32_e32 vcc_lo, 31, v11
	v_cndmask_b32_e32 v8, 0x7c00, v8, vcc_lo
	v_cmp_eq_u32_e32 vcc_lo, 0x40f, v9
	v_cndmask_b32_e32 v2, v10, v2, vcc_lo
	v_cmp_eq_u32_e32 vcc_lo, 0x40f, v11
	v_and_or_b32 v2, 0x8000, v3, v2
	v_cndmask_b32_e32 v6, v8, v6, vcc_lo
	v_and_or_b32 v6, 0x8000, v7, v6
	v_and_b32_e32 v7, 0xffff, v2
	v_add_co_u32 v2, vcc_lo, v4, s19
	v_add_co_ci_u32_e32 v3, vcc_lo, s22, v5, vcc_lo
	v_lshl_or_b32 v4, v6, 16, v7
	global_store_dword v[2:3], v4, off
	global_load_dword v6, v[0:1], off offset:1312
	v_add_nc_u32_e32 v4, 0xc00, v33
	ds_read2_b32 v[4:5], v4 offset0:72 offset1:132
	s_waitcnt lgkmcnt(0)
	v_lshrrev_b32_e32 v7, 16, v4
	s_waitcnt vmcnt(0)
	v_mul_f16_sdwa v8, v7, v6 dst_sel:DWORD dst_unused:UNUSED_PAD src0_sel:DWORD src1_sel:WORD_1
	v_mul_f16_sdwa v9, v4, v6 dst_sel:DWORD dst_unused:UNUSED_PAD src0_sel:DWORD src1_sel:WORD_1
	v_fmac_f16_e32 v8, v4, v6
	v_fma_f16 v4, v6, v7, -v9
	v_cvt_f32_f16_e32 v6, v8
	v_cvt_f32_f16_e32 v4, v4
	v_cvt_f64_f32_e32 v[6:7], v6
	v_cvt_f64_f32_e32 v[8:9], v4
	v_mul_f64 v[6:7], v[6:7], s[20:21]
	v_mul_f64 v[8:9], v[8:9], s[20:21]
	v_and_or_b32 v4, 0x1ff, v7, v6
	v_and_or_b32 v8, 0x1ff, v9, v8
	v_lshrrev_b32_e32 v6, 8, v7
	v_bfe_u32 v10, v7, 20, 11
	v_lshrrev_b32_e32 v11, 8, v9
	v_cmp_ne_u32_e32 vcc_lo, 0, v4
	v_bfe_u32 v12, v9, 20, 11
	v_lshrrev_b32_e32 v7, 16, v7
	v_sub_nc_u32_e32 v13, 0x3f1, v10
	v_add_nc_u32_e32 v10, 0xfffffc10, v10
	v_cndmask_b32_e64 v4, 0, 1, vcc_lo
	v_cmp_ne_u32_e32 vcc_lo, 0, v8
	v_lshrrev_b32_e32 v9, 16, v9
	v_and_or_b32 v4, 0xffe, v6, v4
	v_cndmask_b32_e64 v8, 0, 1, vcc_lo
	v_sub_nc_u32_e32 v6, 0x3f1, v12
	v_add_nc_u32_e32 v12, 0xfffffc10, v12
	v_and_or_b32 v8, 0xffe, v11, v8
	v_med3_i32 v11, v13, 0, 13
	v_or_b32_e32 v13, 0x1000, v4
	v_med3_i32 v6, v6, 0, 13
	v_or_b32_e32 v14, 0x1000, v8
	v_lshrrev_b32_e32 v15, v11, v13
	v_lshrrev_b32_e32 v16, v6, v14
	v_lshlrev_b32_e32 v11, v11, v15
	v_lshlrev_b32_e32 v6, v6, v16
	v_cmp_ne_u32_e32 vcc_lo, v11, v13
	v_lshl_or_b32 v13, v10, 12, v4
	v_cndmask_b32_e64 v11, 0, 1, vcc_lo
	v_cmp_ne_u32_e32 vcc_lo, v6, v14
	v_lshl_or_b32 v14, v12, 12, v8
	v_or_b32_e32 v11, v15, v11
	v_cndmask_b32_e64 v6, 0, 1, vcc_lo
	v_cmp_gt_i32_e32 vcc_lo, 1, v10
	v_or_b32_e32 v6, v16, v6
	v_cndmask_b32_e32 v11, v13, v11, vcc_lo
	v_cmp_gt_i32_e32 vcc_lo, 1, v12
	v_and_b32_e32 v13, 7, v11
	v_cndmask_b32_e32 v6, v14, v6, vcc_lo
	v_cmp_ne_u32_e32 vcc_lo, 0, v4
	v_lshrrev_b32_e32 v11, 2, v11
	v_cmp_eq_u32_e64 s0, 3, v13
	v_and_b32_e32 v14, 7, v6
	v_cndmask_b32_e64 v4, 0, 1, vcc_lo
	v_cmp_ne_u32_e32 vcc_lo, 0, v8
	v_lshrrev_b32_e32 v6, 2, v6
	v_cmp_lt_i32_e64 s1, 5, v14
	v_cmp_eq_u32_e64 s2, 3, v14
	v_cndmask_b32_e64 v8, 0, 1, vcc_lo
	v_cmp_lt_i32_e32 vcc_lo, 5, v13
	v_lshl_or_b32 v4, v4, 9, 0x7c00
	v_lshl_or_b32 v8, v8, 9, 0x7c00
	s_or_b32 vcc_lo, s0, vcc_lo
	v_add_co_ci_u32_e32 v11, vcc_lo, 0, v11, vcc_lo
	s_or_b32 vcc_lo, s2, s1
	v_add_co_ci_u32_e32 v6, vcc_lo, 0, v6, vcc_lo
	v_cmp_gt_i32_e32 vcc_lo, 31, v10
	v_cndmask_b32_e32 v11, 0x7c00, v11, vcc_lo
	v_cmp_gt_i32_e32 vcc_lo, 31, v12
	v_cndmask_b32_e32 v6, 0x7c00, v6, vcc_lo
	v_cmp_eq_u32_e32 vcc_lo, 0x40f, v10
	v_cndmask_b32_e32 v4, v11, v4, vcc_lo
	v_cmp_eq_u32_e32 vcc_lo, 0x40f, v12
	v_and_or_b32 v4, 0x8000, v7, v4
	v_cndmask_b32_e32 v6, v6, v8, vcc_lo
	v_add_co_u32 v2, vcc_lo, v2, s19
	v_add_co_ci_u32_e32 v3, vcc_lo, s22, v3, vcc_lo
	v_and_or_b32 v6, 0x8000, v9, v6
	v_and_b32_e32 v4, 0xffff, v4
	v_lshl_or_b32 v4, v6, 16, v4
	global_store_dword v[2:3], v4, off
	global_load_dword v0, v[0:1], off offset:1552
	v_lshrrev_b32_e32 v1, 16, v5
	s_waitcnt vmcnt(0)
	v_mul_f16_sdwa v4, v1, v0 dst_sel:DWORD dst_unused:UNUSED_PAD src0_sel:DWORD src1_sel:WORD_1
	v_mul_f16_sdwa v6, v5, v0 dst_sel:DWORD dst_unused:UNUSED_PAD src0_sel:DWORD src1_sel:WORD_1
	v_fmac_f16_e32 v4, v5, v0
	v_fma_f16 v0, v0, v1, -v6
	v_cvt_f32_f16_e32 v1, v4
	v_cvt_f32_f16_e32 v4, v0
	v_cvt_f64_f32_e32 v[0:1], v1
	v_cvt_f64_f32_e32 v[4:5], v4
	v_mul_f64 v[0:1], v[0:1], s[20:21]
	v_mul_f64 v[4:5], v[4:5], s[20:21]
	v_and_or_b32 v0, 0x1ff, v1, v0
	v_and_or_b32 v4, 0x1ff, v5, v4
	v_lshrrev_b32_e32 v6, 8, v1
	v_bfe_u32 v7, v1, 20, 11
	v_lshrrev_b32_e32 v8, 8, v5
	v_cmp_ne_u32_e32 vcc_lo, 0, v0
	v_bfe_u32 v9, v5, 20, 11
	v_lshrrev_b32_e32 v1, 16, v1
	v_sub_nc_u32_e32 v10, 0x3f1, v7
	v_add_nc_u32_e32 v7, 0xfffffc10, v7
	v_cndmask_b32_e64 v0, 0, 1, vcc_lo
	v_cmp_ne_u32_e32 vcc_lo, 0, v4
	v_lshrrev_b32_e32 v5, 16, v5
	v_and_or_b32 v0, 0xffe, v6, v0
	v_cndmask_b32_e64 v4, 0, 1, vcc_lo
	v_sub_nc_u32_e32 v6, 0x3f1, v9
	v_add_nc_u32_e32 v9, 0xfffffc10, v9
	v_and_or_b32 v4, 0xffe, v8, v4
	v_med3_i32 v8, v10, 0, 13
	v_or_b32_e32 v10, 0x1000, v0
	v_med3_i32 v6, v6, 0, 13
	v_or_b32_e32 v11, 0x1000, v4
	v_lshrrev_b32_e32 v12, v8, v10
	v_lshrrev_b32_e32 v13, v6, v11
	v_lshlrev_b32_e32 v8, v8, v12
	v_lshlrev_b32_e32 v6, v6, v13
	v_cmp_ne_u32_e32 vcc_lo, v8, v10
	v_lshl_or_b32 v10, v7, 12, v0
	v_cndmask_b32_e64 v8, 0, 1, vcc_lo
	v_cmp_ne_u32_e32 vcc_lo, v6, v11
	v_lshl_or_b32 v11, v9, 12, v4
	v_or_b32_e32 v8, v12, v8
	v_cndmask_b32_e64 v6, 0, 1, vcc_lo
	v_cmp_gt_i32_e32 vcc_lo, 1, v7
	v_or_b32_e32 v6, v13, v6
	v_cndmask_b32_e32 v8, v10, v8, vcc_lo
	v_cmp_gt_i32_e32 vcc_lo, 1, v9
	v_and_b32_e32 v10, 7, v8
	v_cndmask_b32_e32 v6, v11, v6, vcc_lo
	v_cmp_ne_u32_e32 vcc_lo, 0, v0
	v_lshrrev_b32_e32 v8, 2, v8
	v_cmp_eq_u32_e64 s0, 3, v10
	v_and_b32_e32 v11, 7, v6
	v_cndmask_b32_e64 v0, 0, 1, vcc_lo
	v_cmp_ne_u32_e32 vcc_lo, 0, v4
	v_lshrrev_b32_e32 v6, 2, v6
	v_cmp_lt_i32_e64 s1, 5, v11
	v_cmp_eq_u32_e64 s2, 3, v11
	v_cndmask_b32_e64 v4, 0, 1, vcc_lo
	v_cmp_lt_i32_e32 vcc_lo, 5, v10
	v_lshl_or_b32 v0, v0, 9, 0x7c00
	v_lshl_or_b32 v4, v4, 9, 0x7c00
	s_or_b32 vcc_lo, s0, vcc_lo
	v_add_co_ci_u32_e32 v8, vcc_lo, 0, v8, vcc_lo
	s_or_b32 vcc_lo, s2, s1
	v_add_co_ci_u32_e32 v6, vcc_lo, 0, v6, vcc_lo
	v_cmp_gt_i32_e32 vcc_lo, 31, v7
	v_cndmask_b32_e32 v8, 0x7c00, v8, vcc_lo
	v_cmp_gt_i32_e32 vcc_lo, 31, v9
	v_cndmask_b32_e32 v6, 0x7c00, v6, vcc_lo
	v_cmp_eq_u32_e32 vcc_lo, 0x40f, v7
	v_cndmask_b32_e32 v0, v8, v0, vcc_lo
	v_cmp_eq_u32_e32 vcc_lo, 0x40f, v9
	v_and_or_b32 v0, 0x8000, v1, v0
	v_cndmask_b32_e32 v4, v6, v4, vcc_lo
	v_and_b32_e32 v0, 0xffff, v0
	v_and_or_b32 v1, 0x8000, v5, v4
	v_lshl_or_b32 v4, v1, 16, v0
	v_add_co_u32 v0, vcc_lo, v2, s19
	v_add_co_ci_u32_e32 v1, vcc_lo, s22, v3, vcc_lo
	global_store_dword v[0:1], v4, off
.LBB0_23:
	s_endpgm
	.section	.rodata,"a",@progbits
	.p2align	6, 0x0
	.amdhsa_kernel bluestein_single_back_len960_dim1_half_op_CI_CI
		.amdhsa_group_segment_fixed_size 3840
		.amdhsa_private_segment_fixed_size 0
		.amdhsa_kernarg_size 104
		.amdhsa_user_sgpr_count 6
		.amdhsa_user_sgpr_private_segment_buffer 1
		.amdhsa_user_sgpr_dispatch_ptr 0
		.amdhsa_user_sgpr_queue_ptr 0
		.amdhsa_user_sgpr_kernarg_segment_ptr 1
		.amdhsa_user_sgpr_dispatch_id 0
		.amdhsa_user_sgpr_flat_scratch_init 0
		.amdhsa_user_sgpr_private_segment_size 0
		.amdhsa_wavefront_size32 1
		.amdhsa_uses_dynamic_stack 0
		.amdhsa_system_sgpr_private_segment_wavefront_offset 0
		.amdhsa_system_sgpr_workgroup_id_x 1
		.amdhsa_system_sgpr_workgroup_id_y 0
		.amdhsa_system_sgpr_workgroup_id_z 0
		.amdhsa_system_sgpr_workgroup_info 0
		.amdhsa_system_vgpr_workitem_id 0
		.amdhsa_next_free_vgpr 88
		.amdhsa_next_free_sgpr 23
		.amdhsa_reserve_vcc 1
		.amdhsa_reserve_flat_scratch 0
		.amdhsa_float_round_mode_32 0
		.amdhsa_float_round_mode_16_64 0
		.amdhsa_float_denorm_mode_32 3
		.amdhsa_float_denorm_mode_16_64 3
		.amdhsa_dx10_clamp 1
		.amdhsa_ieee_mode 1
		.amdhsa_fp16_overflow 0
		.amdhsa_workgroup_processor_mode 1
		.amdhsa_memory_ordered 1
		.amdhsa_forward_progress 0
		.amdhsa_shared_vgpr_count 0
		.amdhsa_exception_fp_ieee_invalid_op 0
		.amdhsa_exception_fp_denorm_src 0
		.amdhsa_exception_fp_ieee_div_zero 0
		.amdhsa_exception_fp_ieee_overflow 0
		.amdhsa_exception_fp_ieee_underflow 0
		.amdhsa_exception_fp_ieee_inexact 0
		.amdhsa_exception_int_div_zero 0
	.end_amdhsa_kernel
	.text
.Lfunc_end0:
	.size	bluestein_single_back_len960_dim1_half_op_CI_CI, .Lfunc_end0-bluestein_single_back_len960_dim1_half_op_CI_CI
                                        ; -- End function
	.section	.AMDGPU.csdata,"",@progbits
; Kernel info:
; codeLenInByte = 18792
; NumSgprs: 25
; NumVgprs: 88
; ScratchSize: 0
; MemoryBound: 0
; FloatMode: 240
; IeeeMode: 1
; LDSByteSize: 3840 bytes/workgroup (compile time only)
; SGPRBlocks: 3
; VGPRBlocks: 10
; NumSGPRsForWavesPerEU: 25
; NumVGPRsForWavesPerEU: 88
; Occupancy: 10
; WaveLimiterHint : 1
; COMPUTE_PGM_RSRC2:SCRATCH_EN: 0
; COMPUTE_PGM_RSRC2:USER_SGPR: 6
; COMPUTE_PGM_RSRC2:TRAP_HANDLER: 0
; COMPUTE_PGM_RSRC2:TGID_X_EN: 1
; COMPUTE_PGM_RSRC2:TGID_Y_EN: 0
; COMPUTE_PGM_RSRC2:TGID_Z_EN: 0
; COMPUTE_PGM_RSRC2:TIDIG_COMP_CNT: 0
	.text
	.p2alignl 6, 3214868480
	.fill 48, 4, 3214868480
	.type	__hip_cuid_822bdde73b3175c8,@object ; @__hip_cuid_822bdde73b3175c8
	.section	.bss,"aw",@nobits
	.globl	__hip_cuid_822bdde73b3175c8
__hip_cuid_822bdde73b3175c8:
	.byte	0                               ; 0x0
	.size	__hip_cuid_822bdde73b3175c8, 1

	.ident	"AMD clang version 19.0.0git (https://github.com/RadeonOpenCompute/llvm-project roc-6.4.0 25133 c7fe45cf4b819c5991fe208aaa96edf142730f1d)"
	.section	".note.GNU-stack","",@progbits
	.addrsig
	.addrsig_sym __hip_cuid_822bdde73b3175c8
	.amdgpu_metadata
---
amdhsa.kernels:
  - .args:
      - .actual_access:  read_only
        .address_space:  global
        .offset:         0
        .size:           8
        .value_kind:     global_buffer
      - .actual_access:  read_only
        .address_space:  global
        .offset:         8
        .size:           8
        .value_kind:     global_buffer
      - .actual_access:  read_only
        .address_space:  global
        .offset:         16
        .size:           8
        .value_kind:     global_buffer
      - .actual_access:  read_only
        .address_space:  global
        .offset:         24
        .size:           8
        .value_kind:     global_buffer
      - .actual_access:  read_only
        .address_space:  global
        .offset:         32
        .size:           8
        .value_kind:     global_buffer
      - .offset:         40
        .size:           8
        .value_kind:     by_value
      - .address_space:  global
        .offset:         48
        .size:           8
        .value_kind:     global_buffer
      - .address_space:  global
        .offset:         56
        .size:           8
        .value_kind:     global_buffer
      - .address_space:  global
        .offset:         64
        .size:           8
        .value_kind:     global_buffer
      - .address_space:  global
        .offset:         72
        .size:           8
        .value_kind:     global_buffer
      - .offset:         80
        .size:           4
        .value_kind:     by_value
      - .address_space:  global
        .offset:         88
        .size:           8
        .value_kind:     global_buffer
      - .address_space:  global
        .offset:         96
        .size:           8
        .value_kind:     global_buffer
    .group_segment_fixed_size: 3840
    .kernarg_segment_align: 8
    .kernarg_segment_size: 104
    .language:       OpenCL C
    .language_version:
      - 2
      - 0
    .max_flat_workgroup_size: 160
    .name:           bluestein_single_back_len960_dim1_half_op_CI_CI
    .private_segment_fixed_size: 0
    .sgpr_count:     25
    .sgpr_spill_count: 0
    .symbol:         bluestein_single_back_len960_dim1_half_op_CI_CI.kd
    .uniform_work_group_size: 1
    .uses_dynamic_stack: false
    .vgpr_count:     88
    .vgpr_spill_count: 0
    .wavefront_size: 32
    .workgroup_processor_mode: 1
amdhsa.target:   amdgcn-amd-amdhsa--gfx1030
amdhsa.version:
  - 1
  - 2
...

	.end_amdgpu_metadata
